;; amdgpu-corpus repo=ROCm/aiter kind=harvested arch=n/a opt=n/a

/root/src/amdgpu-assembly/repos/ROCm__aiter/hsa/gfx942/fmha_v3_bwd/bwd_hd128_bf16_a32_rtz_pssk_group.co:	file format elf64-amdgpu

Disassembly of section .text:

0000000000003e00 <_ZN5aiter38fmha_bwd_hd128_bf16_a32_rtz_pssk_groupE>:
	s_and_b32 s1, s1, 0xffff                                   // 000000003E00: 8601FF01 0000FFFF
	s_load_dwordx2 s[32:33], s[0:1], 0x0                       // 000000003E08: C0060800 00000000
	s_load_dwordx2 s[36:37], s[0:1], 0x10                      // 000000003E10: C0060900 00000010
	s_load_dwordx2 s[40:41], s[0:1], 0x20                      // 000000003E18: C0060A00 00000020
	s_load_dwordx2 s[8:9], s[0:1], 0x30                        // 000000003E20: C0060200 00000030
	s_load_dwordx2 s[12:13], s[0:1], 0x40                      // 000000003E28: C0060300 00000040
	s_load_dwordx2 s[16:17], s[0:1], 0x50                      // 000000003E30: C0060400 00000050
	s_load_dwordx2 s[20:21], s[0:1], 0x60                      // 000000003E38: C0060500 00000060
	s_load_dwordx2 s[24:25], s[0:1], 0x70                      // 000000003E40: C0060600 00000070
	s_load_dwordx2 s[28:29], s[0:1], 0x80                      // 000000003E48: C0060700 00000080
	s_load_dword s47, s[0:1], 0x90                             // 000000003E50: C0020BC0 00000090
	s_load_dword s48, s[0:1], 0xa0                             // 000000003E58: C0020C00 000000A0
	s_load_dword s74, s[0:1], 0xd0                             // 000000003E60: C0021280 000000D0
	s_load_dword s5, s[0:1], 0xf0                              // 000000003E68: C0020140 000000F0
	s_load_dword s44, s[0:1], 0x100                            // 000000003E70: C0020B00 00000100
	s_load_dword s75, s[0:1], 0x110                            // 000000003E78: C00212C0 00000110
	s_load_dword s6, s[0:1], 0x130                             // 000000003E80: C0020180 00000130
	s_load_dword s52, s[0:1], 0x140                            // 000000003E88: C0020D00 00000140
	s_load_dword s50, s[0:1], 0x160                            // 000000003E90: C0020C80 00000160
	s_load_dword s76, s[0:1], 0x190                            // 000000003E98: C0021300 00000190
	s_load_dword s7, s[0:1], 0x1b0                             // 000000003EA0: C00201C0 000001B0
	s_load_dword s77, s[0:1], 0x1c0                            // 000000003EA8: C0021340 000001C0
	s_load_dword s51, s[0:1], 0x1e0                            // 000000003EB0: C0020CC0 000001E0
	s_load_dword s78, s[0:1], 0x1f0                            // 000000003EB8: C0021380 000001F0
	s_load_dword s79, s[0:1], 0x210                            // 000000003EC0: C00213C0 00000210
	s_load_dword s53, s[0:1], 0x230                            // 000000003EC8: C0020D40 00000230
	s_load_dword s49, s[0:1], 0x240                            // 000000003ED0: C0020C40 00000240
	s_load_dwordx2 s[84:85], s[0:1], 0x250                     // 000000003ED8: C0061500 00000250
	s_load_dwordx2 s[88:89], s[0:1], 0x260                     // 000000003EE0: C0061600 00000260
	s_load_dwordx2 s[92:93], s[0:1], 0x270                     // 000000003EE8: C0061700 00000270
	s_load_dwordx2 s[96:97], s[0:1], 0x280                     // 000000003EF0: C0061800 00000280
	v_lshrrev_b32_e32 v1, 10, v0                               // 000000003EF8: 2002008A
	v_lshrrev_b32_e32 v2, 10, v1                               // 000000003EFC: 2004028A
	v_and_b32_e32 v2, 0x3ff, v2                                // 000000003F00: 260404FF 000003FF
	v_and_b32_e32 v1, 0x3ff, v1                                // 000000003F08: 260202FF 000003FF
	v_and_b32_e32 v0, 0x3ff, v0                                // 000000003F10: 260000FF 000003FF
	v_lshrrev_b32_e32 v3, 6, v0                                // 000000003F18: 20060086
	v_and_b32_e32 v0, 63, v0                                   // 000000003F1C: 260000BF
	s_mov_b32 s2, s2                                           // 000000003F20: BE820002
	s_mov_b32 s3, s3                                           // 000000003F24: BE830003
	s_mov_b32 s4, s4                                           // 000000003F28: BE840004
	v_readfirstlane_b32 s46, v3                                // 000000003F2C: 7E5C0503
	s_waitcnt lgkmcnt(0)                                       // 000000003F30: BF8CC07F
	s_mul_i32 s60, s4, 4                                       // 000000003F34: 923C8404
	s_add_u32 s84, s60, s84                                    // 000000003F38: 8054543C
	s_addc_u32 s85, 0, s85                                     // 000000003F3C: 82555580
	s_load_dwordx2 s[80:81], s[84:85], 0x0                     // 000000003F40: C006142A 00000000
	s_add_u32 s92, s60, s92                                    // 000000003F48: 805C5C3C
	s_addc_u32 s93, 0, s93                                     // 000000003F4C: 825D5D80
	s_load_dword s86, s[92:93], 0x0                            // 000000003F50: C00215AE 00000000
	s_add_u32 s88, s60, s88                                    // 000000003F58: 8058583C
	s_addc_u32 s89, 0, s89                                     // 000000003F5C: 82595980
	s_load_dwordx2 s[82:83], s[88:89], 0x0                     // 000000003F60: C00614AC 00000000
	s_add_u32 s96, s60, s96                                    // 000000003F68: 8060603C
	s_addc_u32 s97, 0, s97                                     // 000000003F6C: 82616180
	s_load_dword s87, s[96:97], 0x0                            // 000000003F70: C00215F0 00000000
	s_mov_b32 s11, 0x20000                                     // 000000003F78: BE8B00FF 00020000
	s_mov_b32 s15, 0x20000                                     // 000000003F80: BE8F00FF 00020000
	s_mov_b32 s19, 0x20000                                     // 000000003F88: BE9300FF 00020000
	s_mov_b32 s23, 0x20000                                     // 000000003F90: BE9700FF 00020000
	s_mov_b32 s27, 0x20000                                     // 000000003F98: BE9B00FF 00020000
	s_mov_b32 s31, 0x20000                                     // 000000003FA0: BE9F00FF 00020000
	s_mov_b32 s35, 0x20000                                     // 000000003FA8: BEA300FF 00020000
	s_mov_b32 s39, 0x20000                                     // 000000003FB0: BEA700FF 00020000
	s_mov_b32 s43, 0x20000                                     // 000000003FB8: BEAB00FF 00020000
	s_and_b32 s9, s9, 0xffff                                   // 000000003FC0: 8609FF09 0000FFFF
	s_and_b32 s13, s13, 0xffff                                 // 000000003FC8: 860DFF0D 0000FFFF
	s_and_b32 s17, s17, 0xffff                                 // 000000003FD0: 8611FF11 0000FFFF
	s_and_b32 s21, s21, 0xffff                                 // 000000003FD8: 8615FF15 0000FFFF
	s_and_b32 s25, s25, 0xffff                                 // 000000003FE0: 8619FF19 0000FFFF
	s_and_b32 s29, s29, 0xffff                                 // 000000003FE8: 861DFF1D 0000FFFF
	s_and_b32 s33, s33, 0xffff                                 // 000000003FF0: 8621FF21 0000FFFF
	s_and_b32 s37, s37, 0xffff                                 // 000000003FF8: 8625FF25 0000FFFF
	s_and_b32 s41, s41, 0xffff                                 // 000000004000: 8629FF29 0000FFFF
	s_or_b32 s9, s9, 0x40000                                   // 000000004008: 8709FF09 00040000
	s_or_b32 s13, s13, 0x40000                                 // 000000004010: 870DFF0D 00040000
	s_or_b32 s17, s17, 0x40000                                 // 000000004018: 8711FF11 00040000
	s_or_b32 s21, s21, 0x40000                                 // 000000004020: 8715FF15 00040000
	s_or_b32 s25, s25, 0x40000                                 // 000000004028: 8719FF19 00040000
	s_or_b32 s29, s29, 0x40000                                 // 000000004030: 871DFF1D 00040000
	s_or_b32 s33, s33, 0x40000                                 // 000000004038: 8721FF21 00040000
	s_or_b32 s37, s37, 0x40000                                 // 000000004040: 8725FF25 00040000
	s_or_b32 s41, s41, 0x40000                                 // 000000004048: 8729FF29 00040000
	s_waitcnt lgkmcnt(0)                                       // 000000004050: BF8CC07F
	s_mul_i32 s61, s2, 0xc0                                    // 000000004054: 923DFF02 000000C0
	s_sub_i32 s83, s83, s82                                    // 00000000405C: 81D35253
	s_mov_b32 s82, s87                                         // 000000004060: BED20057
	s_sub_i32 s81, s81, s80                                    // 000000004064: 81D15051
	s_mov_b32 s80, s86                                         // 000000004068: BED00056
	s_cmp_gt_i32 s81, 0                                        // 00000000406C: BF028051
	s_cbranch_scc0 label_1CCB                                  // 000000004070: BF841C1A
	s_mov_b32 s58, s81                                         // 000000004074: BEBA0051
	s_mov_b32 s59, 0                                           // 000000004078: BEBB0080
	s_cmp_ge_i32 s61, s83                                      // 00000000407C: BF03533D
	s_cbranch_scc1 label_1CCB                                  // 000000004080: BF851C16
	v_accvgpr_write_b32 a255, 0                                // 000000004084: D3D940FF 18000080
	v_mov_b32_e32 v255, 0                                      // 00000000408C: 7FFE0280
	s_mov_b32 s71, s3                                          // 000000004090: BEC70003
	v_cvt_f32_u32_e32 v28, s44                                 // 000000004094: 7E380C2C
	s_sub_i32 s60, 0, s44                                      // 000000004098: 81BC2C80
	v_rcp_iflag_f32_e32 v28, v28                               // 00000000409C: 7E38471C
	s_nop 0                                                    // 0000000040A0: BF800000
	v_mul_f32_e32 v28, 0x4f7ffffe, v28                         // 0000000040A4: 0A3838FF 4F7FFFFE
	v_cvt_u32_f32_e32 v28, v28                                 // 0000000040AC: 7E380F1C
	v_mul_lo_u32 v29, s60, v28                                 // 0000000040B0: D285001D 0002383C
	v_mul_hi_u32 v29, v28, v29                                 // 0000000040B8: D286001D 00023B1C
	v_add_u32_e32 v28, v28, v29                                // 0000000040C0: 68383B1C
	v_mul_hi_u32 v28, s71, v28                                 // 0000000040C4: D286001C 00023847
	v_mul_lo_u32 v29, v28, s44                                 // 0000000040CC: D285001D 0000591C
	v_sub_u32_e32 v31, s71, v29                                // 0000000040D4: 6A3E3A47
	v_add_u32_e32 v30, 1, v28                                  // 0000000040D8: 683C3881
	v_cmp_le_u32_e32 vcc, s44, v31                             // 0000000040DC: 7D963E2C
	v_subrev_u32_e32 v29, s44, v31                             // 0000000040E0: 6C3A3E2C
	s_nop 0                                                    // 0000000040E4: BF800000
	v_cndmask_b32_e32 v28, v28, v30, vcc                       // 0000000040E8: 00383D1C
	v_cndmask_b32_e32 v31, v31, v29, vcc                       // 0000000040EC: 003E3B1F
	v_add_u32_e32 v29, 1, v28                                  // 0000000040F0: 683A3881
	v_cmp_le_u32_e32 vcc, s44, v31                             // 0000000040F4: 7D963E2C
	s_nop 1                                                    // 0000000040F8: BF800001
	v_cndmask_b32_e32 v31, v28, v29, vcc                       // 0000000040FC: 003E3B1C
	s_nop 3                                                    // 000000004100: BF800003
	v_readfirstlane_b32 s45, v31                               // 000000004104: 7E5A051F
	s_nop 3                                                    // 000000004108: BF800003
	s_mov_b32 s84, s8                                          // 00000000410C: BED40008
	s_mov_b32 s86, s12                                         // 000000004110: BED6000C
	s_mov_b32 s88, s16                                         // 000000004114: BED80010
	s_mov_b32 s90, s20                                         // 000000004118: BEDA0014
	s_mov_b32 s85, s9                                          // 00000000411C: BED50009
	s_mov_b32 s87, s13                                         // 000000004120: BED7000D
	s_mov_b32 s89, s17                                         // 000000004124: BED90011
	s_mov_b32 s91, s21                                         // 000000004128: BEDB0015
	v_mov_b32_e32 v28, s47                                     // 00000000412C: 7E38022F
	v_mul_f32_e32 v28, s48, v28                                // 000000004130: 0A383830
	s_mov_b32 s66, 0                                           // 000000004134: BEC20080
	s_mov_b32 s63, 0x5040100                                   // 000000004138: BEBF00FF 05040100
	s_mov_b32 s64, 0x7060302                                   // 000000004140: BEC000FF 07060302
	v_readfirstlane_b32 s57, v28                               // 000000004148: 7E72051C
	v_mov_b32_e32 v30, 0x3020706                               // 00000000414C: 7E3C02FF 03020706
	v_mov_b32_e32 v28, s63                                     // 000000004154: 7E38023F
	v_and_b32_e32 v29, 1, v0                                   // 000000004158: 263A0081
	v_cmp_eq_u32_e32 vcc, 1, v29                               // 00000000415C: 7D943A81
	s_mul_i32 s60, s50, 64                                     // 000000004160: 923CC032
	s_mov_b32 s67, s60                                         // 000000004164: BEC3003C
	v_cndmask_b32_e32 v15, v28, v30, vcc                       // 000000004168: 001E3D1C
	v_mov_b32_e32 v151, 0xff800000                             // 00000000416C: 7F2E02FF FF800000
	s_mul_i32 s68, 4, s5                                       // 000000004174: 92440584
	s_mul_i32 s101, 4, s51                                     // 000000004178: 92653384
	s_mov_b32 s69, 16                                          // 00000000417C: BEC50090
	s_mul_i32 s60, s6, 0xc0                                    // 000000004180: 923CFF06 000000C0
	s_mul_i32 s60, s2, s60                                     // 000000004188: 923C3C02
	s_mul_i32 s61, s45, s75                                    // 00000000418C: 923D4B2D
	s_add_u32 s54, s60, s61                                    // 000000004190: 80363D3C
	s_mul_i32 s60, s2, 0xc0                                    // 000000004194: 923CFF02 000000C0
	s_sub_i32 s60, s83, s60                                    // 00000000419C: 81BC3C53
	s_mul_i32 s60, s6, s60                                     // 0000000041A0: 923C3C06
	s_lshr_b32 s60, s60, 2                                     // 0000000041A4: 8F3C823C
	s_mov_b32 s14, s60                                         // 0000000041A8: BE8E003C
	s_add_u32 s12, s54, s86                                    // 0000000041AC: 800C5636
	s_addc_u32 s13, 0, s87                                     // 0000000041B0: 820D5780
	s_mul_i32 s60, s82, s6                                     // 0000000041B4: 923C0652
	s_mul_hi_u32 s61, s82, s6                                  // 0000000041B8: 963D0652
	s_and_b32 s61, s61, 0xffff                                 // 0000000041BC: 863DFF3D 0000FFFF
	s_add_u32 s12, s12, s60                                    // 0000000041C4: 800C3C0C
	s_addc_u32 s13, s13, s61                                   // 0000000041C8: 820D3D0D
	s_mul_i32 s60, s7, 0xc0                                    // 0000000041CC: 923CFF07 000000C0
	s_mul_i32 s60, s2, s60                                     // 0000000041D4: 923C3C02
	s_mul_i32 s61, s45, s76                                    // 0000000041D8: 923D4C2D
	s_add_u32 s54, s60, s61                                    // 0000000041DC: 80363D3C
	s_mul_i32 s60, s2, 0xc0                                    // 0000000041E0: 923CFF02 000000C0
	s_sub_i32 s60, s83, s60                                    // 0000000041E8: 81BC3C53
	s_mul_i32 s60, s7, s60                                     // 0000000041EC: 923C3C07
	s_lshr_b32 s60, s60, 2                                     // 0000000041F0: 8F3C823C
	s_mov_b32 s18, s60                                         // 0000000041F4: BE92003C
	s_add_u32 s16, s54, s88                                    // 0000000041F8: 80105836
	s_addc_u32 s17, 0, s89                                     // 0000000041FC: 82115980
	s_mul_i32 s60, s82, s7                                     // 000000004200: 923C0752
	s_mul_hi_u32 s61, s82, s7                                  // 000000004204: 963D0752
	s_and_b32 s61, s61, 0xffff                                 // 000000004208: 863DFF3D 0000FFFF
	s_add_u32 s16, s16, s60                                    // 000000004210: 80103C10
	s_addc_u32 s17, s17, s61                                   // 000000004214: 82113D11
	s_mul_i32 s61, s3, s74                                     // 000000004218: 923D4A03
	s_mov_b32 s55, s61                                         // 00000000421C: BEB7003D
	s_mul_i32 s60, s5, s81                                     // 000000004220: 923C5105
	s_lshr_b32 s60, s60, 2                                     // 000000004224: 8F3C823C
	s_mov_b32 s10, s60                                         // 000000004228: BE8A003C
	s_add_u32 s8, s55, s84                                     // 00000000422C: 80085437
	s_addc_u32 s9, 0, s85                                      // 000000004230: 82095580
	s_mul_i32 s60, s80, s5                                     // 000000004234: 923C0550
	s_mul_hi_u32 s61, s80, s5                                  // 000000004238: 963D0550
	s_and_b32 s61, s61, 0xffff                                 // 00000000423C: 863DFF3D 0000FFFF
	s_add_u32 s8, s8, s60                                      // 000000004244: 80083C08
	s_addc_u32 s9, s9, s61                                     // 000000004248: 82093D09
	s_mul_i32 s61, s3, s77                                     // 00000000424C: 923D4D03
	s_mov_b32 s56, s61                                         // 000000004250: BEB8003D
	s_mul_i32 s60, s51, s81                                    // 000000004254: 923C5133
	s_lshr_b32 s60, s60, 2                                     // 000000004258: 8F3C823C
	s_mov_b32 s22, s60                                         // 00000000425C: BE96003C
	s_add_u32 s20, s56, s90                                    // 000000004260: 80145A38
	s_addc_u32 s21, 0, s91                                     // 000000004264: 82155B80
	s_mul_i32 s60, s80, s51                                    // 000000004268: 923C3350
	s_mul_hi_u32 s61, s80, s51                                 // 00000000426C: 963D3350
	s_and_b32 s61, s61, 0xffff                                 // 000000004270: 863DFF3D 0000FFFF
	s_add_u32 s20, s20, s60                                    // 000000004278: 80143C14
	s_addc_u32 s21, s21, s61                                   // 00000000427C: 82153D15
	s_mul_i32 s62, 4, s80                                      // 000000004280: 923E5084
	s_mul_i32 s61, s3, s49                                     // 000000004284: 923D3103
	s_add_u32 s65, s61, s62                                    // 000000004288: 80413E3D
	s_mul_i32 s60, 4, s81                                      // 00000000428C: 923C5184
	s_add_u32 s60, s60, s61                                    // 000000004290: 803C3D3C
	s_add_u32 s60, s60, s62                                    // 000000004294: 803C3E3C
	s_lshr_b32 s60, s60, 2                                     // 000000004298: 8F3C823C
	s_mov_b32 s26, s60                                         // 00000000429C: BE9A003C
	s_mov_b32 s30, s60                                         // 0000000042A0: BE9E003C
	s_cmp_lt_u32 s46, 2                                        // 0000000042A4: BF0A822E
	s_cselect_b32 s24, s24, s28                                // 0000000042A8: 85181C18
	s_cselect_b32 s25, s25, s29                                // 0000000042AC: 85191D19
	s_cselect_b32 s26, s26, s30                                // 0000000042B0: 851A1E1A
	s_cselect_b32 s27, s27, s31                                // 0000000042B4: 851B1F1B
	s_mov_b32 s71, s6                                          // 0000000042B8: BEC70006
	v_lshrrev_b32_e32 v28, 4, v0                               // 0000000042BC: 20380084
	v_and_b32_e32 v29, 1, v28                                  // 0000000042C0: 263A3881
	v_lshlrev_b32_e32 v29, 1, v29                              // 0000000042C4: 243A3A81
	v_mul_i32_i24_e32 v29, s71, v29                            // 0000000042C8: 0C3A3A47
	v_and_b32_e32 v30, 2, v28                                  // 0000000042CC: 263C3882
	v_lshlrev_b32_e32 v30, 5, v30                              // 0000000042D0: 243C3C85
	v_add_u32_e32 v29, v30, v29                                // 0000000042D4: 683A3B1E
	v_and_b32_e32 v28, 15, v0                                  // 0000000042D8: 2638008F
	v_lshlrev_b32_e32 v28, 2, v28                              // 0000000042DC: 24383882
	v_add_u32_e32 v1, v28, v29                                 // 0000000042E0: 68023B1C
	s_and_b32 s60, 1, s46                                      // 0000000042E4: 863C2E81
	s_mul_i32 s60, s60, s71                                    // 0000000042E8: 923C473C
	s_mul_i32 s60, s60, 8                                      // 0000000042EC: 923C883C
	s_lshr_b32 s61, s46, 1                                     // 0000000042F0: 8F3D812E
	s_mul_i32 s61, s61, 0x80                                   // 0000000042F4: 923DFF3D 00000080
	s_add_u32 s60, s60, s61                                    // 0000000042FC: 803C3D3C
	v_add_u32_e32 v1, s60, v1                                  // 000000004300: 6802023C
	v_add_u32_e32 v2, s71, v1                                  // 000000004304: 68040247
	s_mul_i32 s60, 4, s71                                      // 000000004308: 923C4784
	v_add_u32_e32 v3, s60, v1                                  // 00000000430C: 6806023C
	v_add_u32_e32 v4, s60, v2                                  // 000000004310: 6808043C
	s_mov_b32 s71, s7                                          // 000000004314: BEC70007
	v_lshrrev_b32_e32 v28, 4, v0                               // 000000004318: 20380084
	v_and_b32_e32 v29, 1, v28                                  // 00000000431C: 263A3881
	v_lshlrev_b32_e32 v29, 1, v29                              // 000000004320: 243A3A81
	v_mul_i32_i24_e32 v29, s71, v29                            // 000000004324: 0C3A3A47
	v_and_b32_e32 v30, 2, v28                                  // 000000004328: 263C3882
	v_lshlrev_b32_e32 v30, 5, v30                              // 00000000432C: 243C3C85
	v_add_u32_e32 v29, v30, v29                                // 000000004330: 683A3B1E
	v_and_b32_e32 v28, 15, v0                                  // 000000004334: 2638008F
	v_lshlrev_b32_e32 v28, 2, v28                              // 000000004338: 24383882
	v_add_u32_e32 v252, v28, v29                               // 00000000433C: 69F83B1C
	s_and_b32 s60, 1, s46                                      // 000000004340: 863C2E81
	s_mul_i32 s60, s60, s71                                    // 000000004344: 923C473C
	s_mul_i32 s60, s60, 8                                      // 000000004348: 923C883C
	s_lshr_b32 s61, s46, 1                                     // 00000000434C: 8F3D812E
	s_mul_i32 s61, s61, 0x80                                   // 000000004350: 923DFF3D 00000080
	s_add_u32 s60, s60, s61                                    // 000000004358: 803C3D3C
	v_add_u32_e32 v252, s60, v252                              // 00000000435C: 69F9F83C
	v_add_u32_e32 v253, s71, v252                              // 000000004360: 69FBF847
	s_mul_i32 s60, 4, s71                                      // 000000004364: 923C4784
	v_add_u32_e32 v254, s60, v252                              // 000000004368: 69FDF83C
	v_add_u32_e32 v255, s60, v253                              // 00000000436C: 69FFFA3C
	v_lshrrev_b32_e32 v1, 2, v1                                // 000000004370: 20020282
	v_lshrrev_b32_e32 v2, 2, v2                                // 000000004374: 20040482
	;; [unrolled: 1-line block ×3, first 2 shown]
	v_lshrrev_b32_e32 v4, 2, v4                                // 00000000437C: 20080882
	v_lshrrev_b32_e32 v252, 2, v252                            // 000000004380: 21F9F882
	v_lshrrev_b32_e32 v253, 2, v253                            // 000000004384: 21FBFA82
	v_lshrrev_b32_e32 v254, 2, v254                            // 000000004388: 21FDFC82
	v_lshrrev_b32_e32 v255, 2, v255                            // 00000000438C: 21FFFE82
	v_and_b32_e32 v9, 15, v0                                   // 000000004390: 2612008F
	v_lshlrev_b32_e32 v9, 2, v9                                // 000000004394: 24121282
	v_add_u32_e32 v9, s65, v9                                  // 000000004398: 68121241
	v_lshrrev_b32_e32 v9, 2, v9                                // 00000000439C: 20121282
	s_mov_b32 s70, s52                                         // 0000000043A0: BEC60034
	v_lshrrev_b32_e32 v28, 4, v0                               // 0000000043A4: 20380084
	v_mul_i32_i24_e32 v5, s70, v28                             // 0000000043A8: 0C0A3846
	v_lshrrev_b32_e32 v5, 2, v5                                // 0000000043AC: 200A0A82
	v_and_b32_e32 v28, 15, v0                                  // 0000000043B0: 2638008F
	v_lshlrev_b32_e32 v29, 2, v28                              // 0000000043B4: 243A3882
	v_add_u32_e32 v5, v29, v5                                  // 0000000043B8: 680A0B1D
	s_mul_i32 s60, 16, s70                                     // 0000000043BC: 923C4690
	s_mul_i32 s60, s46, s60                                    // 0000000043C0: 923C3C2E
	v_lshlrev_b32_e32 v5, 2, v5                                // 0000000043C4: 240A0A82
	v_add_u32_e32 v5, s60, v5                                  // 0000000043C8: 680A0A3C
	s_mul_i32 s60, 0xc0, s52                                   // 0000000043CC: 923C34FF 000000C0
	s_mul_i32 s60, s2, s60                                     // 0000000043D4: 923C3C02
	s_mul_i32 s61, s3, s78                                     // 0000000043D8: 923D4E03
	s_mul_i32 s62, s82, s52                                    // 0000000043DC: 923E3452
	s_add_u32 s60, s60, s61                                    // 0000000043E0: 803C3D3C
	v_add_u32_e32 v5, s60, v5                                  // 0000000043E4: 680A0A3C
	v_lshrrev_b32_e32 v5, 2, v5                                // 0000000043E8: 200A0A82
	s_mul_i32 s60, s83, s52                                    // 0000000043EC: 923C3453
	s_add_u32 s60, s60, s61                                    // 0000000043F0: 803C3D3C
	s_lshr_b32 s60, s60, 2                                     // 0000000043F4: 8F3C823C
	s_mov_b32 s38, s60                                         // 0000000043F8: BEA6003C
	s_mul_hi_u32 s61, s82, s52                                 // 0000000043FC: 963D3452
	s_and_b32 s61, s61, 0xffff                                 // 000000004400: 863DFF3D 0000FFFF
	s_add_u32 s36, s62, s36                                    // 000000004408: 8024243E
	s_addc_u32 s37, s61, s37                                   // 00000000440C: 8225253D
	s_mov_b32 s70, s53                                         // 000000004410: BEC60035
	v_lshrrev_b32_e32 v28, 4, v0                               // 000000004414: 20380084
	v_mul_i32_i24_e32 v6, s70, v28                             // 000000004418: 0C0C3846
	v_lshrrev_b32_e32 v6, 2, v6                                // 00000000441C: 200C0C82
	v_and_b32_e32 v28, 15, v0                                  // 000000004420: 2638008F
	v_lshlrev_b32_e32 v29, 2, v28                              // 000000004424: 243A3882
	v_add_u32_e32 v6, v29, v6                                  // 000000004428: 680C0D1D
	s_mul_i32 s60, 16, s70                                     // 00000000442C: 923C4690
	s_mul_i32 s60, s46, s60                                    // 000000004430: 923C3C2E
	v_lshlrev_b32_e32 v6, 2, v6                                // 000000004434: 240C0C82
	v_add_u32_e32 v6, s60, v6                                  // 000000004438: 680C0C3C
	s_mul_i32 s60, 0xc0, s53                                   // 00000000443C: 923C35FF 000000C0
	s_mul_i32 s60, s2, s60                                     // 000000004444: 923C3C02
	s_mul_i32 s61, s3, s79                                     // 000000004448: 923D4F03
	s_mul_i32 s62, s82, s53                                    // 00000000444C: 923E3552
	s_add_u32 s60, s60, s61                                    // 000000004450: 803C3D3C
	v_add_u32_e32 v6, s60, v6                                  // 000000004454: 680C0C3C
	v_lshrrev_b32_e32 v6, 2, v6                                // 000000004458: 200C0C82
	s_mul_i32 s60, s83, s53                                    // 00000000445C: 923C3553
	s_add_u32 s60, s60, s61                                    // 000000004460: 803C3D3C
	s_lshr_b32 s60, s60, 2                                     // 000000004464: 8F3C823C
	s_mov_b32 s42, s60                                         // 000000004468: BEAA003C
	s_mul_hi_u32 s61, s82, s53                                 // 00000000446C: 963D3552
	s_and_b32 s61, s61, 0xffff                                 // 000000004470: 863DFF3D 0000FFFF
	s_add_u32 s40, s62, s40                                    // 000000004478: 8028283E
	s_addc_u32 s41, s61, s41                                   // 00000000447C: 8229293D
	v_lshrrev_b32_e32 v28, 5, v0                               // 000000004480: 20380085
	v_mul_i32_i24_e64 v29, s50, 2                              // 000000004484: D106001D 00010432
	v_mul_i32_i24_e32 v7, v29, v28                             // 00000000448C: 0C0E391D
	v_and_b32_e32 v28, 31, v0                                  // 000000004490: 2638009F
	v_add_u32_e32 v7, v28, v7                                  // 000000004494: 680E0F1C
	s_mul_i32 s60, 4, s50                                      // 000000004498: 923C3284
	s_mul_i32 s60, s46, s60                                    // 00000000449C: 923C3C2E
	v_add_u32_e32 v7, s60, v7                                  // 0000000044A0: 680E0E3C
	v_lshlrev_b32_e32 v7, 2, v7                                // 0000000044A4: 240E0E82
	v_mul_i32_i24_e32 v29, 2, v29                              // 0000000044A8: 0C3A3A82
	v_add_u32_e32 v8, v29, v7                                  // 0000000044AC: 68100F1D
	s_mul_i32 s72, s50, s65                                    // 0000000044B0: 92484132
	s_mul_hi_u32 s62, s50, s65                                 // 0000000044B4: 963E4132
	s_and_b32 s62, s62, 0xffff                                 // 0000000044B8: 863EFF3E 0000FFFF
	s_add_u32 s32, s72, s32                                    // 0000000044C0: 80202048
	s_addc_u32 s33, s62, s33                                   // 0000000044C4: 8221213E
	s_mul_i32 s60, s50, s81                                    // 0000000044C8: 923C5132
	s_lshl_b32 s60, s60, 2                                     // 0000000044CC: 8E3C823C
	s_mov_b32 s34, s60                                         // 0000000044D0: BEA2003C
	s_mul_i32 s60, 3, s2                                       // 0000000044D4: 923C0283
	s_add_u32 s61, s83, 63                                     // 0000000044D8: 803DBF53
	s_lshr_b32 s61, s61, 6                                     // 0000000044DC: 8F3D863D
	s_sub_i32 s73, s61, s60                                    // 0000000044E0: 81C93C3D
	s_cmp_lt_i32 s73, 3                                        // 0000000044E4: BF048349
	s_cselect_b32 s73, s73, 3                                  // 0000000044E8: 85498349
	v_mov_b32_e32 v249, 0xffff0000                             // 0000000044EC: 7FF202FF FFFF0000
	v_mov_b32_e32 v250, 0x7fff0000                             // 0000000044F4: 7FF402FF 7FFF0000
	v_mov_b32_e32 v251, 0x7fff                                 // 0000000044FC: 7FF602FF 00007FFF
	s_mul_i32 s60, 0xc0, s2                                    // 000000004504: 923C02FF 000000C0
	s_sub_i32 s81, s83, s60                                    // 00000000450C: 81D13C53
	s_lshr_b32 s60, s46, 1                                     // 000000004510: 8F3C812E
	s_lshl_b32 s60, s60, 8                                     // 000000004514: 8E3C883C
	s_add_u32 s76, 0xc600, s60                                 // 000000004518: 804C3CFF 0000C600
	s_add_u32 s77, 0x200, s76                                  // 000000004520: 804D4CFF 00000200
	s_mov_b32 m0, s76                                          // 000000004528: BEFC004C
	v_and_b32_e32 v28, 31, v0                                  // 00000000452C: 2638009F
	v_lshrrev_b32_e32 v28, 1, v28                              // 000000004530: 20383881
	v_and_b32_e32 v29, 1, v28                                  // 000000004534: 263A3881
	v_lshlrev_b32_e32 v29, 4, v29                              // 000000004538: 243A3A84
	v_and_b32_e32 v30, 2, v28                                  // 00000000453C: 263C3882
	v_lshlrev_b32_e32 v30, 2, v30                              // 000000004540: 243C3C82
	v_add_u32_e32 v29, v30, v29                                // 000000004544: 683A3B1E
	v_and_b32_e32 v30, 12, v28                                 // 000000004548: 263C388C
	v_lshrrev_b32_e32 v30, 1, v30                              // 00000000454C: 203C3C81
	v_add_u32_e32 v29, v30, v29                                // 000000004550: 683A3B1E
	v_lshrrev_b32_e32 v28, 5, v0                               // 000000004554: 20380085
	v_mul_i32_i24_e32 v30, 0x80, v28                           // 000000004558: 0C3C38FF 00000080
	v_add_u32_e32 v29, v30, v29                                // 000000004560: 683A3B1E
	v_and_b32_e32 v30, 1, v0                                   // 000000004564: 263C0081
	v_add_u32_e32 v11, v30, v29                                // 000000004568: 68163B1E
	s_and_b32 s60, 1, s46                                      // 00000000456C: 863C2E81
	s_mul_i32 s60, s60, 64                                     // 000000004570: 923CC03C
	s_lshr_b32 s61, s46, 1                                     // 000000004574: 8F3D812E
	s_mul_i32 s61, s61, 0x220                                  // 000000004578: 923DFF3D 00000220
	s_add_u32 s60, s60, s61                                    // 000000004580: 803C3D3C
	v_add_u32_e32 v11, s60, v11                                // 000000004584: 6816163C
	v_lshlrev_b32_e32 v11, 2, v11                              // 000000004588: 24161682
	v_lshrrev_b32_e32 v28, 4, v0                               // 00000000458C: 20380084
	v_and_b32_e32 v29, 1, v28                                  // 000000004590: 263A3881
	v_lshlrev_b32_e32 v29, 4, v29                              // 000000004594: 243A3A84
	v_and_b32_e32 v30, 2, v28                                  // 000000004598: 263C3882
	v_mul_i32_i24_e32 v30, 4, v30                              // 00000000459C: 0C3C3C84
	v_add_u32_e32 v29, v30, v29                                // 0000000045A0: 683A3B1E
	v_and_b32_e32 v28, 15, v0                                  // 0000000045A4: 2638008F
	v_lshrrev_b32_e32 v30, 2, v28                              // 0000000045A8: 203C3882
	v_lshlrev_b32_e32 v30, 5, v30                              // 0000000045AC: 243C3C85
	v_add_u32_e32 v29, v30, v29                                // 0000000045B0: 683A3B1E
	v_and_b32_e32 v28, 3, v0                                   // 0000000045B4: 26380083
	v_and_b32_e32 v30, 1, v28                                  // 0000000045B8: 263C3881
	v_mul_i32_i24_e32 v30, 0x108, v30                          // 0000000045BC: 0C3C3CFF 00000108
	v_add_u32_e32 v29, v30, v29                                // 0000000045C4: 683A3B1E
	v_and_b32_e32 v30, 2, v28                                  // 0000000045C8: 263C3882
	v_lshlrev_b32_e32 v30, 1, v30                              // 0000000045CC: 243C3C81
	v_add_u32_e32 v10, v30, v29                                // 0000000045D0: 68143B1E
	v_lshlrev_b32_e32 v10, 2, v10                              // 0000000045D4: 24141482
	s_mul_i32 s60, s46, 0x1100                                 // 0000000045D8: 923CFF2E 00001100
	v_add_u32_e32 v22, s60, v10                                // 0000000045E0: 682C143C
	v_lshrrev_b32_e32 v28, 5, v0                               // 0000000045E4: 20380085
	v_mul_i32_i24_e32 v13, 0x80, v28                           // 0000000045E8: 0C1A38FF 00000080
	v_and_b32_e32 v28, 31, v0                                  // 0000000045F0: 2638009F
	v_and_b32_e32 v29, 7, v28                                  // 0000000045F4: 263A3887
	v_and_b32_e32 v30, 1, v29                                  // 0000000045F8: 263C3A81
	v_lshlrev_b32_e32 v30, 2, v30                              // 0000000045FC: 243C3C82
	v_add_u32_e32 v13, v30, v13                                // 000000004600: 681A1B1E
	v_and_b32_e32 v30, 2, v29                                  // 000000004604: 263C3A82
	v_lshlrev_b32_e32 v30, 3, v30                              // 000000004608: 243C3C83
	v_add_u32_e32 v13, v30, v13                                // 00000000460C: 681A1B1E
	v_and_b32_e32 v30, 4, v29                                  // 000000004610: 263C3A84
	v_lshlrev_b32_e32 v30, 1, v30                              // 000000004614: 243C3C81
	v_add_u32_e32 v13, v30, v13                                // 000000004618: 681A1B1E
	v_lshrrev_b32_e32 v29, 3, v28                              // 00000000461C: 203A3883
	v_and_b32_e32 v30, 1, v29                                  // 000000004620: 263C3A81
	v_lshlrev_b32_e32 v30, 1, v30                              // 000000004624: 243C3C81
	v_add_u32_e32 v13, v30, v13                                // 000000004628: 681A1B1E
	v_and_b32_e32 v30, 2, v29                                  // 00000000462C: 263C3A82
	v_lshrrev_b32_e32 v30, 1, v30                              // 000000004630: 203C3C81
	v_add_u32_e32 v13, v30, v13                                // 000000004634: 681A1B1E
	s_and_b32 s60, 1, s46                                      // 000000004638: 863C2E81
	s_mul_i32 s60, s60, 64                                     // 00000000463C: 923CC03C
	s_lshr_b32 s61, s46, 1                                     // 000000004640: 8F3D812E
	s_mul_i32 s61, s61, 0x220                                  // 000000004644: 923DFF3D 00000220
	s_add_u32 s60, s60, s61                                    // 00000000464C: 803C3D3C
	v_add_u32_e32 v13, s60, v13                                // 000000004650: 681A1A3C
	v_lshlrev_b32_e32 v13, 2, v13                              // 000000004654: 241A1A82
	v_and_b32_e32 v28, 15, v0                                  // 000000004658: 2638008F
	v_and_b32_e32 v30, 1, v28                                  // 00000000465C: 263C3881
	v_mul_i32_i24_e32 v12, 0x108, v30                          // 000000004660: 0C183CFF 00000108
	v_and_b32_e32 v30, 2, v28                                  // 000000004668: 263C3882
	v_lshlrev_b32_e32 v30, 1, v30                              // 00000000466C: 243C3C81
	v_add_u32_e32 v12, v30, v12                                // 000000004670: 6818191E
	v_and_b32_e32 v30, 4, v28                                  // 000000004674: 263C3884
	v_lshlrev_b32_e32 v30, 2, v30                              // 000000004678: 243C3C82
	v_add_u32_e32 v12, v30, v12                                // 00000000467C: 6818191E
	v_and_b32_e32 v30, 8, v28                                  // 000000004680: 263C3888
	v_add_u32_e32 v12, v30, v12                                // 000000004684: 6818191E
	v_lshrrev_b32_e32 v28, 4, v0                               // 000000004688: 20380084
	v_and_b32_e32 v30, 1, v28                                  // 00000000468C: 263C3881
	v_lshlrev_b32_e32 v30, 5, v30                              // 000000004690: 243C3C85
	v_add_u32_e32 v12, v30, v12                                // 000000004694: 6818191E
	v_and_b32_e32 v29, 2, v28                                  // 000000004698: 263A3882
	v_mul_i32_i24_e32 v30, 32, v29                             // 00000000469C: 0C3C3AA0
	v_mul_i32_i24_e32 v29, 0x220, v29                          // 0000000046A0: 0C3A3AFF 00000220
	v_add_u32_e32 v23, v29, v12                                // 0000000046A8: 682E191D
	v_add_u32_e32 v12, v30, v12                                // 0000000046AC: 6818191E
	v_lshlrev_b32_e32 v12, 2, v12                              // 0000000046B0: 24181882
	v_lshlrev_b32_e32 v23, 2, v23                              // 0000000046B4: 242E2E82
	s_and_b32 s60, 1, s46                                      // 0000000046B8: 863C2E81
	s_mul_i32 s60, s60, 0x200                                  // 0000000046BC: 923CFF3C 00000200
	s_lshr_b32 s61, s46, 1                                     // 0000000046C4: 8F3D812E
	s_mul_i32 s61, s61, 0x880                                  // 0000000046C8: 923DFF3D 00000880
	s_add_u32 s60, s60, s61                                    // 0000000046D0: 803C3D3C
	v_add_u32_e32 v23, s60, v23                                // 0000000046D4: 682E2E3C
	v_lshrrev_b32_e32 v28, 4, v0                               // 0000000046D8: 20380084
	v_mul_i32_i24_e32 v21, 4, v28                              // 0000000046DC: 0C2A3884
	v_and_b32_e32 v29, 3, v0                                   // 0000000046E0: 263A0083
	v_add_u32_e32 v21, v29, v21                                // 0000000046E4: 682A2B1D
	v_lshlrev_b32_e32 v21, 2, v21                              // 0000000046E8: 242A2A82
	v_lshrrev_b32_e32 v28, 4, v0                               // 0000000046EC: 20380084
	v_and_b32_e32 v29, 1, v28                                  // 0000000046F0: 263A3881
	v_mul_i32_i24_e32 v19, 0x100, v29                          // 0000000046F4: 0C263AFF 00000100
	v_and_b32_e32 v29, 2, v28                                  // 0000000046FC: 263A3882
	v_mul_i32_i24_e32 v29, 64, v29                             // 000000004700: 0C3A3AC0
	v_add_u32_e32 v19, v29, v19                                // 000000004704: 6826271D
	v_and_b32_e32 v28, 15, v0                                  // 000000004708: 2638008F
	v_mul_i32_i24_e32 v29, 2, v28                              // 00000000470C: 0C3A3882
	v_add_u32_e32 v19, v29, v19                                // 000000004710: 6826271D
	s_mul_i32 s60, s46, 32                                     // 000000004714: 923CA02E
	v_add_u32_e32 v19, s60, v19                                // 000000004718: 6826263C
	v_lshlrev_b32_e32 v19, 2, v19                              // 00000000471C: 24262682
	v_lshlrev_b32_e32 v20, 1, v0                               // 000000004720: 24280081
	s_mul_i32 s60, s46, 0x200                                  // 000000004724: 923CFF2E 00000200
	v_add_u32_e32 v20, s60, v20                                // 00000000472C: 6828283C
	v_lshlrev_b32_e32 v20, 2, v20                              // 000000004730: 24282882
	v_lshrrev_b32_e32 v28, 5, v0                               // 000000004734: 20380085
	v_mul_i32_i24_e32 v17, 64, v28                             // 000000004738: 0C2238C0
	v_and_b32_e32 v28, 31, v0                                  // 00000000473C: 2638009F
	v_and_b32_e32 v28, 3, v28                                  // 000000004740: 26383883
	v_and_b32_e32 v29, 1, v28                                  // 000000004744: 263A3881
	v_mul_i32_i24_e32 v29, 4, v29                              // 000000004748: 0C3A3A84
	v_add_u32_e32 v17, v29, v17                                // 00000000474C: 6822231D
	v_and_b32_e32 v29, 2, v28                                  // 000000004750: 263A3882
	v_mul_i32_i24_e32 v29, 0x44, v29                           // 000000004754: 0C3A3AFF 00000044
	v_add_u32_e32 v17, v29, v17                                // 00000000475C: 6822231D
	v_and_b32_e32 v28, 31, v0                                  // 000000004760: 2638009F
	v_lshrrev_b32_e32 v28, 2, v28                              // 000000004764: 20383882
	v_lshrrev_b32_e32 v30, 2, v28                              // 000000004768: 203C3882
	v_mul_i32_i24_e32 v29, 16, v30                             // 00000000476C: 0C3A3C90
	v_add_u32_e32 v17, v29, v17                                // 000000004770: 6822231D
	v_and_b32_e32 v29, 2, v28                                  // 000000004774: 263A3882
	v_lshlrev_b32_e32 v29, 4, v29                              // 000000004778: 243A3A84
	v_add_u32_e32 v17, v29, v17                                // 00000000477C: 6822231D
	v_and_b32_e32 v29, 1, v28                                  // 000000004780: 263A3881
	v_xor_b32_e32 v29, v30, v29                                // 000000004784: 2A3A3B1E
	v_mul_i32_i24_e32 v29, 8, v29                              // 000000004788: 0C3A3A88
	v_add_u32_e32 v17, v29, v17                                // 00000000478C: 6822231D
	v_lshlrev_b32_e32 v17, 2, v17                              // 000000004790: 24222282
	v_lshrrev_b32_e32 v28, 5, v0                               // 000000004794: 20380085
	v_mul_i32_i24_e32 v18, 32, v28                             // 000000004798: 0C2438A0
	v_and_b32_e32 v28, 31, v0                                  // 00000000479C: 2638009F
	v_and_b32_e32 v28, 3, v28                                  // 0000000047A0: 26383883
	v_and_b32_e32 v29, 1, v28                                  // 0000000047A4: 263A3881
	v_mul_i32_i24_e32 v29, 4, v29                              // 0000000047A8: 0C3A3A84
	v_add_u32_e32 v18, v29, v18                                // 0000000047AC: 6824251D
	v_and_b32_e32 v29, 2, v28                                  // 0000000047B0: 263A3882
	v_lshrrev_b32_e32 v29, 1, v29                              // 0000000047B4: 203A3A81
	v_add_u32_e32 v18, v29, v18                                // 0000000047B8: 6824251D
	v_and_b32_e32 v28, 31, v0                                  // 0000000047BC: 2638009F
	v_lshrrev_b32_e32 v28, 2, v28                              // 0000000047C0: 20383882
	v_and_b32_e32 v30, 1, v28                                  // 0000000047C4: 263C3881
	v_mul_i32_i24_e32 v29, 16, v30                             // 0000000047C8: 0C3A3C90
	v_add_u32_e32 v18, v29, v18                                // 0000000047CC: 6824251D
	v_and_b32_e32 v29, 2, v28                                  // 0000000047D0: 263A3882
	v_add_u32_e32 v18, v29, v18                                // 0000000047D4: 6824251D
	v_lshrrev_b32_e32 v29, 2, v28                              // 0000000047D8: 203A3882
	v_xor_b32_e32 v29, v30, v29                                // 0000000047DC: 2A3A3B1E
	v_mul_i32_i24_e32 v29, 8, v29                              // 0000000047E0: 0C3A3A88
	v_add_u32_e32 v18, v29, v18                                // 0000000047E4: 6824251D
	s_and_b32 s60, 1, s46                                      // 0000000047E8: 863C2E81
	s_mul_i32 s60, s60, 64                                     // 0000000047EC: 923CC03C
	s_lshr_b32 s61, s46, 1                                     // 0000000047F0: 8F3D812E
	s_mul_i32 s61, s61, 0x120                                  // 0000000047F4: 923DFF3D 00000120
	s_add_u32 s60, s60, s61                                    // 0000000047FC: 803C3D3C
	v_add_u32_e32 v18, s60, v18                                // 000000004800: 6824243C
	v_lshlrev_b32_e32 v18, 2, v18                              // 000000004804: 24242482
	buffer_load_dword v152, v1, s[12:15], 0 idxen              // 000000004808: E0502000 80039801
	buffer_load_dword v153, v2, s[12:15], 0 idxen              // 000000004810: E0502000 80039902
	buffer_load_dword v154, v3, s[12:15], 0 idxen              // 000000004818: E0502000 80039A03
	buffer_load_dword v155, v4, s[12:15], 0 idxen              // 000000004820: E0502000 80039B04
	s_mul_i32 s60, 4, s6                                       // 000000004828: 923C0684
	s_cmp_lt_i32 0, s73                                        // 00000000482C: BF044980
	s_cselect_b32 s60, s60, 0                                  // 000000004830: 853C803C
	v_add_u32_e32 v1, s60, v1                                  // 000000004834: 6802023C
	v_add_u32_e32 v2, s60, v2                                  // 000000004838: 6804043C
	v_add_u32_e32 v3, s60, v3                                  // 00000000483C: 6806063C
	v_add_u32_e32 v4, s60, v4                                  // 000000004840: 6808083C
	buffer_load_dword v156, v1, s[12:15], 0 idxen              // 000000004844: E0502000 80039C01
	buffer_load_dword v157, v2, s[12:15], 0 idxen              // 00000000484C: E0502000 80039D02
	buffer_load_dword v158, v3, s[12:15], 0 idxen              // 000000004854: E0502000 80039E03
	buffer_load_dword v159, v4, s[12:15], 0 idxen              // 00000000485C: E0502000 80039F04
	s_mul_i32 s60, 4, s6                                       // 000000004864: 923C0684
	s_cmp_lt_i32 0, s73                                        // 000000004868: BF044980
	s_cselect_b32 s60, s60, 0                                  // 00000000486C: 853C803C
	v_add_u32_e32 v1, s60, v1                                  // 000000004870: 6802023C
	v_add_u32_e32 v2, s60, v2                                  // 000000004874: 6804043C
	v_add_u32_e32 v3, s60, v3                                  // 000000004878: 6806063C
	v_add_u32_e32 v4, s60, v4                                  // 00000000487C: 6808083C
	buffer_load_dword v160, v1, s[12:15], 0 idxen              // 000000004880: E0502000 8003A001
	buffer_load_dword v161, v2, s[12:15], 0 idxen              // 000000004888: E0502000 8003A102
	buffer_load_dword v162, v3, s[12:15], 0 idxen              // 000000004890: E0502000 8003A203
	buffer_load_dword v163, v4, s[12:15], 0 idxen              // 000000004898: E0502000 8003A304
	s_mul_i32 s60, 4, s6                                       // 0000000048A0: 923C0684
	s_cmp_lt_i32 0, s73                                        // 0000000048A4: BF044980
	s_cselect_b32 s60, s60, 0                                  // 0000000048A8: 853C803C
	v_add_u32_e32 v1, s60, v1                                  // 0000000048AC: 6802023C
	v_add_u32_e32 v2, s60, v2                                  // 0000000048B0: 6804043C
	v_add_u32_e32 v3, s60, v3                                  // 0000000048B4: 6806063C
	v_add_u32_e32 v4, s60, v4                                  // 0000000048B8: 6808083C
	buffer_load_dword v164, v1, s[12:15], 0 idxen              // 0000000048BC: E0502000 8003A401
	buffer_load_dword v165, v2, s[12:15], 0 idxen              // 0000000048C4: E0502000 8003A502
	buffer_load_dword v166, v3, s[12:15], 0 idxen              // 0000000048CC: E0502000 8003A603
	buffer_load_dword v167, v4, s[12:15], 0 idxen              // 0000000048D4: E0502000 8003A704
	s_mul_i32 s60, 4, s6                                       // 0000000048DC: 923C0684
	s_cmp_lt_i32 1, s73                                        // 0000000048E0: BF044981
	s_cselect_b32 s60, s60, 0                                  // 0000000048E4: 853C803C
	v_add_u32_e32 v1, s60, v1                                  // 0000000048E8: 6802023C
	v_add_u32_e32 v2, s60, v2                                  // 0000000048EC: 6804043C
	v_add_u32_e32 v3, s60, v3                                  // 0000000048F0: 6806063C
	v_add_u32_e32 v4, s60, v4                                  // 0000000048F4: 6808083C
	buffer_load_dword v168, v1, s[12:15], 0 idxen              // 0000000048F8: E0502000 8003A801
	buffer_load_dword v169, v2, s[12:15], 0 idxen              // 000000004900: E0502000 8003A902
	buffer_load_dword v170, v3, s[12:15], 0 idxen              // 000000004908: E0502000 8003AA03
	buffer_load_dword v171, v4, s[12:15], 0 idxen              // 000000004910: E0502000 8003AB04
	s_mul_i32 s60, 4, s6                                       // 000000004918: 923C0684
	s_cmp_lt_i32 1, s73                                        // 00000000491C: BF044981
	s_cselect_b32 s60, s60, 0                                  // 000000004920: 853C803C
	v_add_u32_e32 v1, s60, v1                                  // 000000004924: 6802023C
	v_add_u32_e32 v2, s60, v2                                  // 000000004928: 6804043C
	v_add_u32_e32 v3, s60, v3                                  // 00000000492C: 6806063C
	v_add_u32_e32 v4, s60, v4                                  // 000000004930: 6808083C
	buffer_load_dword v172, v1, s[12:15], 0 idxen              // 000000004934: E0502000 8003AC01
	buffer_load_dword v173, v2, s[12:15], 0 idxen              // 00000000493C: E0502000 8003AD02
	buffer_load_dword v174, v3, s[12:15], 0 idxen              // 000000004944: E0502000 8003AE03
	buffer_load_dword v175, v4, s[12:15], 0 idxen              // 00000000494C: E0502000 8003AF04
	s_mul_i32 s60, 4, s6                                       // 000000004954: 923C0684
	s_cmp_lt_i32 1, s73                                        // 000000004958: BF044981
	s_cselect_b32 s60, s60, 0                                  // 00000000495C: 853C803C
	v_add_u32_e32 v1, s60, v1                                  // 000000004960: 6802023C
	v_add_u32_e32 v2, s60, v2                                  // 000000004964: 6804043C
	v_add_u32_e32 v3, s60, v3                                  // 000000004968: 6806063C
	v_add_u32_e32 v4, s60, v4                                  // 00000000496C: 6808083C
	buffer_load_dword v176, v1, s[12:15], 0 idxen              // 000000004970: E0502000 8003B001
	buffer_load_dword v177, v2, s[12:15], 0 idxen              // 000000004978: E0502000 8003B102
	buffer_load_dword v178, v3, s[12:15], 0 idxen              // 000000004980: E0502000 8003B203
	buffer_load_dword v179, v4, s[12:15], 0 idxen              // 000000004988: E0502000 8003B304
	s_mul_i32 s60, 4, s6                                       // 000000004990: 923C0684
	s_cmp_lt_i32 1, s73                                        // 000000004994: BF044981
	s_cselect_b32 s60, s60, 0                                  // 000000004998: 853C803C
	v_add_u32_e32 v1, s60, v1                                  // 00000000499C: 6802023C
	v_add_u32_e32 v2, s60, v2                                  // 0000000049A0: 6804043C
	v_add_u32_e32 v3, s60, v3                                  // 0000000049A4: 6806063C
	v_add_u32_e32 v4, s60, v4                                  // 0000000049A8: 6808083C
	buffer_load_dword v180, v1, s[12:15], 0 idxen              // 0000000049AC: E0502000 8003B401
	buffer_load_dword v181, v2, s[12:15], 0 idxen              // 0000000049B4: E0502000 8003B502
	buffer_load_dword v182, v3, s[12:15], 0 idxen              // 0000000049BC: E0502000 8003B603
	buffer_load_dword v183, v4, s[12:15], 0 idxen              // 0000000049C4: E0502000 8003B704
	s_mul_i32 s60, 4, s6                                       // 0000000049CC: 923C0684
	s_cmp_lt_i32 2, s73                                        // 0000000049D0: BF044982
	s_cselect_b32 s60, s60, 0                                  // 0000000049D4: 853C803C
	v_add_u32_e32 v1, s60, v1                                  // 0000000049D8: 6802023C
	v_add_u32_e32 v2, s60, v2                                  // 0000000049DC: 6804043C
	v_add_u32_e32 v3, s60, v3                                  // 0000000049E0: 6806063C
	v_add_u32_e32 v4, s60, v4                                  // 0000000049E4: 6808083C
	buffer_load_dword v184, v1, s[12:15], 0 idxen              // 0000000049E8: E0502000 8003B801
	buffer_load_dword v185, v2, s[12:15], 0 idxen              // 0000000049F0: E0502000 8003B902
	buffer_load_dword v186, v3, s[12:15], 0 idxen              // 0000000049F8: E0502000 8003BA03
	buffer_load_dword v187, v4, s[12:15], 0 idxen              // 000000004A00: E0502000 8003BB04
	s_mul_i32 s60, 4, s6                                       // 000000004A08: 923C0684
	s_cmp_lt_i32 2, s73                                        // 000000004A0C: BF044982
	s_cselect_b32 s60, s60, 0                                  // 000000004A10: 853C803C
	v_add_u32_e32 v1, s60, v1                                  // 000000004A14: 6802023C
	v_add_u32_e32 v2, s60, v2                                  // 000000004A18: 6804043C
	v_add_u32_e32 v3, s60, v3                                  // 000000004A1C: 6806063C
	v_add_u32_e32 v4, s60, v4                                  // 000000004A20: 6808083C
	buffer_load_dword v188, v1, s[12:15], 0 idxen              // 000000004A24: E0502000 8003BC01
	buffer_load_dword v189, v2, s[12:15], 0 idxen              // 000000004A2C: E0502000 8003BD02
	buffer_load_dword v190, v3, s[12:15], 0 idxen              // 000000004A34: E0502000 8003BE03
	buffer_load_dword v191, v4, s[12:15], 0 idxen              // 000000004A3C: E0502000 8003BF04
	s_mul_i32 s60, 4, s6                                       // 000000004A44: 923C0684
	s_cmp_lt_i32 2, s73                                        // 000000004A48: BF044982
	s_cselect_b32 s60, s60, 0                                  // 000000004A4C: 853C803C
	v_add_u32_e32 v1, s60, v1                                  // 000000004A50: 6802023C
	v_add_u32_e32 v2, s60, v2                                  // 000000004A54: 6804043C
	v_add_u32_e32 v3, s60, v3                                  // 000000004A58: 6806063C
	v_add_u32_e32 v4, s60, v4                                  // 000000004A5C: 6808083C
	buffer_load_dword v192, v1, s[12:15], 0 idxen              // 000000004A60: E0502000 8003C001
	buffer_load_dword v193, v2, s[12:15], 0 idxen              // 000000004A68: E0502000 8003C102
	buffer_load_dword v194, v3, s[12:15], 0 idxen              // 000000004A70: E0502000 8003C203
	buffer_load_dword v195, v4, s[12:15], 0 idxen              // 000000004A78: E0502000 8003C304
	s_mul_i32 s60, 4, s6                                       // 000000004A80: 923C0684
	s_cmp_lt_i32 2, s73                                        // 000000004A84: BF044982
	s_cselect_b32 s60, s60, 0                                  // 000000004A88: 853C803C
	v_add_u32_e32 v1, s60, v1                                  // 000000004A8C: 6802023C
	v_add_u32_e32 v2, s60, v2                                  // 000000004A90: 6804043C
	v_add_u32_e32 v3, s60, v3                                  // 000000004A94: 6806063C
	v_add_u32_e32 v4, s60, v4                                  // 000000004A98: 6808083C
	buffer_load_dword v196, v1, s[12:15], 0 idxen              // 000000004A9C: E0502000 8003C401
	buffer_load_dword v197, v2, s[12:15], 0 idxen              // 000000004AA4: E0502000 8003C502
	buffer_load_dword v198, v3, s[12:15], 0 idxen              // 000000004AAC: E0502000 8003C603
	buffer_load_dword v199, v4, s[12:15], 0 idxen              // 000000004AB4: E0502000 8003C704
	s_mul_i32 s60, 4, s6                                       // 000000004ABC: 923C0684
	s_cmp_lt_i32 3, s73                                        // 000000004AC0: BF044983
	s_cselect_b32 s60, s60, 0                                  // 000000004AC4: 853C803C
	v_add_u32_e32 v1, s60, v1                                  // 000000004AC8: 6802023C
	v_add_u32_e32 v2, s60, v2                                  // 000000004ACC: 6804043C
	v_add_u32_e32 v3, s60, v3                                  // 000000004AD0: 6806063C
	v_add_u32_e32 v4, s60, v4                                  // 000000004AD4: 6808083C
	s_waitcnt vmcnt(32) lgkmcnt(0)                             // 000000004AD8: BF8C8070
	s_barrier                                                  // 000000004ADC: BF8A0000
	s_cmp_lt_i32 0, s73                                        // 000000004AE0: BF044980
	s_cbranch_scc1 label_034A                                  // 000000004AE4: BF850010
	v_mov_b32_e32 v152, 0                                      // 000000004AE8: 7F300280
	v_mov_b32_e32 v153, 0                                      // 000000004AEC: 7F320280
	v_mov_b32_e32 v154, 0                                      // 000000004AF0: 7F340280
	v_mov_b32_e32 v155, 0                                      // 000000004AF4: 7F360280
	v_mov_b32_e32 v156, 0                                      // 000000004AF8: 7F380280
	v_mov_b32_e32 v157, 0                                      // 000000004AFC: 7F3A0280
	v_mov_b32_e32 v158, 0                                      // 000000004B00: 7F3C0280
	v_mov_b32_e32 v159, 0                                      // 000000004B04: 7F3E0280
	v_mov_b32_e32 v160, 0                                      // 000000004B08: 7F400280
	v_mov_b32_e32 v161, 0                                      // 000000004B0C: 7F420280
	v_mov_b32_e32 v162, 0                                      // 000000004B10: 7F440280
	v_mov_b32_e32 v163, 0                                      // 000000004B14: 7F460280
	v_mov_b32_e32 v164, 0                                      // 000000004B18: 7F480280
	v_mov_b32_e32 v165, 0                                      // 000000004B1C: 7F4A0280
	v_mov_b32_e32 v166, 0                                      // 000000004B20: 7F4C0280
	v_mov_b32_e32 v167, 0                                      // 000000004B24: 7F4E0280

0000000000004b28 <label_034A>:
	v_perm_b32 v200, v153, v152, s63                           // 000000004B28: D1ED00C8 00FF3199
	v_perm_b32 v201, v153, v152, s64                           // 000000004B30: D1ED00C9 01033199
	v_perm_b32 v202, v155, v154, s63                           // 000000004B38: D1ED00CA 00FF359B
	v_perm_b32 v203, v155, v154, s64                           // 000000004B40: D1ED00CB 0103359B
	v_perm_b32 v204, v157, v156, s63                           // 000000004B48: D1ED00CC 00FF399D
	v_perm_b32 v205, v157, v156, s64                           // 000000004B50: D1ED00CD 0103399D
	v_perm_b32 v206, v159, v158, s63                           // 000000004B58: D1ED00CE 00FF3D9F
	v_perm_b32 v207, v159, v158, s64                           // 000000004B60: D1ED00CF 01033D9F
	v_perm_b32 v208, v161, v160, s63                           // 000000004B68: D1ED00D0 00FF41A1
	v_perm_b32 v209, v161, v160, s64                           // 000000004B70: D1ED00D1 010341A1
	v_perm_b32 v210, v163, v162, s63                           // 000000004B78: D1ED00D2 00FF45A3
	v_perm_b32 v211, v163, v162, s64                           // 000000004B80: D1ED00D3 010345A3
	v_perm_b32 v212, v165, v164, s63                           // 000000004B88: D1ED00D4 00FF49A5
	v_perm_b32 v213, v165, v164, s64                           // 000000004B90: D1ED00D5 010349A5
	v_perm_b32 v214, v167, v166, s63                           // 000000004B98: D1ED00D6 00FF4DA7
	v_perm_b32 v215, v167, v166, s64                           // 000000004BA0: D1ED00D7 01034DA7
	ds_write_b32 v13, v200 offset:17408                        // 000000004BA8: D81A4400 0000C80D
	ds_write_b32 v13, v201 offset:18464                        // 000000004BB0: D81A4820 0000C90D
	ds_write_b32 v13, v202 offset:17536                        // 000000004BB8: D81A4480 0000CA0D
	ds_write_b32 v13, v203 offset:18592                        // 000000004BC0: D81A48A0 0000CB0D
	ds_write_b32 v13, v204 offset:21760                        // 000000004BC8: D81A5500 0000CC0D
	ds_write_b32 v13, v205 offset:22816                        // 000000004BD0: D81A5920 0000CD0D
	ds_write_b32 v13, v206 offset:21888                        // 000000004BD8: D81A5580 0000CE0D
	ds_write_b32 v13, v207 offset:22944                        // 000000004BE0: D81A59A0 0000CF0D
	ds_write_b32 v13, v208 offset:26112                        // 000000004BE8: D81A6600 0000D00D
	ds_write_b32 v13, v209 offset:27168                        // 000000004BF0: D81A6A20 0000D10D
	ds_write_b32 v13, v210 offset:26240                        // 000000004BF8: D81A6680 0000D20D
	ds_write_b32 v13, v211 offset:27296                        // 000000004C00: D81A6AA0 0000D30D
	ds_write_b32 v13, v212 offset:30464                        // 000000004C08: D81A7700 0000D40D
	ds_write_b32 v13, v213 offset:31520                        // 000000004C10: D81A7B20 0000D50D
	ds_write_b32 v13, v214 offset:30592                        // 000000004C18: D81A7780 0000D60D
	ds_write_b32 v13, v215 offset:31648                        // 000000004C20: D81A7BA0 0000D70D
	ds_write_b32 v11, v152                                     // 000000004C28: D81A0000 0000980B
	ds_write_b32 v11, v153 offset:1056                         // 000000004C30: D81A0420 0000990B
	ds_write_b32 v11, v154 offset:128                          // 000000004C38: D81A0080 00009A0B
	ds_write_b32 v11, v155 offset:1184                         // 000000004C40: D81A04A0 00009B0B
	ds_write_b32 v11, v156 offset:4352                         // 000000004C48: D81A1100 00009C0B
	ds_write_b32 v11, v157 offset:5408                         // 000000004C50: D81A1520 00009D0B
	ds_write_b32 v11, v158 offset:4480                         // 000000004C58: D81A1180 00009E0B
	ds_write_b32 v11, v159 offset:5536                         // 000000004C60: D81A15A0 00009F0B
	ds_write_b32 v11, v160 offset:8704                         // 000000004C68: D81A2200 0000A00B
	ds_write_b32 v11, v161 offset:9760                         // 000000004C70: D81A2620 0000A10B
	ds_write_b32 v11, v162 offset:8832                         // 000000004C78: D81A2280 0000A20B
	ds_write_b32 v11, v163 offset:9888                         // 000000004C80: D81A26A0 0000A30B
	ds_write_b32 v11, v164 offset:13056                        // 000000004C88: D81A3300 0000A40B
	ds_write_b32 v11, v165 offset:14112                        // 000000004C90: D81A3720 0000A50B
	ds_write_b32 v11, v166 offset:13184                        // 000000004C98: D81A3380 0000A60B
	ds_write_b32 v11, v167 offset:14240                        // 000000004CA0: D81A37A0 0000A70B
	buffer_load_dword v152, v252, s[16:19], 0 idxen            // 000000004CA8: E0502000 800498FC
	buffer_load_dword v153, v253, s[16:19], 0 idxen            // 000000004CB0: E0502000 800499FD
	buffer_load_dword v154, v254, s[16:19], 0 idxen            // 000000004CB8: E0502000 80049AFE
	buffer_load_dword v155, v255, s[16:19], 0 idxen            // 000000004CC0: E0502000 80049BFF
	s_mul_i32 s60, 4, s7                                       // 000000004CC8: 923C0784
	s_cmp_lt_i32 0, s73                                        // 000000004CCC: BF044980
	s_cselect_b32 s60, s60, 0                                  // 000000004CD0: 853C803C
	v_add_u32_e32 v252, s60, v252                              // 000000004CD4: 69F9F83C
	v_add_u32_e32 v253, s60, v253                              // 000000004CD8: 69FBFA3C
	v_add_u32_e32 v254, s60, v254                              // 000000004CDC: 69FDFC3C
	v_add_u32_e32 v255, s60, v255                              // 000000004CE0: 69FFFE3C
	buffer_load_dword v156, v252, s[16:19], 0 idxen            // 000000004CE4: E0502000 80049CFC
	buffer_load_dword v157, v253, s[16:19], 0 idxen            // 000000004CEC: E0502000 80049DFD
	buffer_load_dword v158, v254, s[16:19], 0 idxen            // 000000004CF4: E0502000 80049EFE
	buffer_load_dword v159, v255, s[16:19], 0 idxen            // 000000004CFC: E0502000 80049FFF
	s_mul_i32 s60, 4, s7                                       // 000000004D04: 923C0784
	s_cmp_lt_i32 0, s73                                        // 000000004D08: BF044980
	s_cselect_b32 s60, s60, 0                                  // 000000004D0C: 853C803C
	v_add_u32_e32 v252, s60, v252                              // 000000004D10: 69F9F83C
	v_add_u32_e32 v253, s60, v253                              // 000000004D14: 69FBFA3C
	v_add_u32_e32 v254, s60, v254                              // 000000004D18: 69FDFC3C
	v_add_u32_e32 v255, s60, v255                              // 000000004D1C: 69FFFE3C
	buffer_load_dword v160, v252, s[16:19], 0 idxen            // 000000004D20: E0502000 8004A0FC
	buffer_load_dword v161, v253, s[16:19], 0 idxen            // 000000004D28: E0502000 8004A1FD
	buffer_load_dword v162, v254, s[16:19], 0 idxen            // 000000004D30: E0502000 8004A2FE
	buffer_load_dword v163, v255, s[16:19], 0 idxen            // 000000004D38: E0502000 8004A3FF
	s_mul_i32 s60, 4, s7                                       // 000000004D40: 923C0784
	s_cmp_lt_i32 0, s73                                        // 000000004D44: BF044980
	s_cselect_b32 s60, s60, 0                                  // 000000004D48: 853C803C
	v_add_u32_e32 v252, s60, v252                              // 000000004D4C: 69F9F83C
	v_add_u32_e32 v253, s60, v253                              // 000000004D50: 69FBFA3C
	v_add_u32_e32 v254, s60, v254                              // 000000004D54: 69FDFC3C
	v_add_u32_e32 v255, s60, v255                              // 000000004D58: 69FFFE3C
	buffer_load_dword v164, v252, s[16:19], 0 idxen            // 000000004D5C: E0502000 8004A4FC
	buffer_load_dword v165, v253, s[16:19], 0 idxen            // 000000004D64: E0502000 8004A5FD
	buffer_load_dword v166, v254, s[16:19], 0 idxen            // 000000004D6C: E0502000 8004A6FE
	buffer_load_dword v167, v255, s[16:19], 0 idxen            // 000000004D74: E0502000 8004A7FF
	s_mul_i32 s60, 4, s7                                       // 000000004D7C: 923C0784
	s_cmp_lt_i32 1, s73                                        // 000000004D80: BF044981
	s_cselect_b32 s60, s60, 0                                  // 000000004D84: 853C803C
	v_add_u32_e32 v252, s60, v252                              // 000000004D88: 69F9F83C
	v_add_u32_e32 v253, s60, v253                              // 000000004D8C: 69FBFA3C
	v_add_u32_e32 v254, s60, v254                              // 000000004D90: 69FDFC3C
	v_add_u32_e32 v255, s60, v255                              // 000000004D94: 69FFFE3C
	s_waitcnt lgkmcnt(0)                                       // 000000004D98: BF8CC07F
	s_barrier                                                  // 000000004D9C: BF8A0000
	ds_read_b128 a[48:51], v23 offset:17408                    // 000000004DA0: DBFE4400 30000017
	ds_read_b128 a[52:55], v23 offset:17664                    // 000000004DA8: DBFE4500 34000017
	ds_read_b128 a[56:59], v23 offset:26112                    // 000000004DB0: DBFE6600 38000017
	ds_read_b128 a[60:63], v23 offset:26368                    // 000000004DB8: DBFE6700 3C000017
	ds_read_b128 a[0:3], v22                                   // 000000004DC0: DBFE0000 00000016
	ds_read_b128 a[4:7], v22 offset:512                        // 000000004DC8: DBFE0200 04000016
	ds_read_b128 a[8:11], v22 offset:2176                      // 000000004DD0: DBFE0880 08000016
	ds_read_b128 a[12:15], v22 offset:2688                     // 000000004DD8: DBFE0A80 0C000016
	s_waitcnt vmcnt(32) lgkmcnt(0)                             // 000000004DE0: BF8C8070
	s_barrier                                                  // 000000004DE4: BF8A0000
	s_cmp_lt_i32 1, s73                                        // 000000004DE8: BF044981
	s_cbranch_scc1 label_040C                                  // 000000004DEC: BF850010
	v_mov_b32_e32 v168, 0                                      // 000000004DF0: 7F500280
	v_mov_b32_e32 v169, 0                                      // 000000004DF4: 7F520280
	v_mov_b32_e32 v170, 0                                      // 000000004DF8: 7F540280
	v_mov_b32_e32 v171, 0                                      // 000000004DFC: 7F560280
	v_mov_b32_e32 v172, 0                                      // 000000004E00: 7F580280
	v_mov_b32_e32 v173, 0                                      // 000000004E04: 7F5A0280
	v_mov_b32_e32 v174, 0                                      // 000000004E08: 7F5C0280
	v_mov_b32_e32 v175, 0                                      // 000000004E0C: 7F5E0280
	v_mov_b32_e32 v176, 0                                      // 000000004E10: 7F600280
	v_mov_b32_e32 v177, 0                                      // 000000004E14: 7F620280
	v_mov_b32_e32 v178, 0                                      // 000000004E18: 7F640280
	v_mov_b32_e32 v179, 0                                      // 000000004E1C: 7F660280
	v_mov_b32_e32 v180, 0                                      // 000000004E20: 7F680280
	v_mov_b32_e32 v181, 0                                      // 000000004E24: 7F6A0280
	v_mov_b32_e32 v182, 0                                      // 000000004E28: 7F6C0280
	v_mov_b32_e32 v183, 0                                      // 000000004E2C: 7F6E0280

0000000000004e30 <label_040C>:
	v_perm_b32 v200, v169, v168, s63                           // 000000004E30: D1ED00C8 00FF51A9
	v_perm_b32 v201, v169, v168, s64                           // 000000004E38: D1ED00C9 010351A9
	v_perm_b32 v202, v171, v170, s63                           // 000000004E40: D1ED00CA 00FF55AB
	v_perm_b32 v203, v171, v170, s64                           // 000000004E48: D1ED00CB 010355AB
	v_perm_b32 v204, v173, v172, s63                           // 000000004E50: D1ED00CC 00FF59AD
	v_perm_b32 v205, v173, v172, s64                           // 000000004E58: D1ED00CD 010359AD
	v_perm_b32 v206, v175, v174, s63                           // 000000004E60: D1ED00CE 00FF5DAF
	v_perm_b32 v207, v175, v174, s64                           // 000000004E68: D1ED00CF 01035DAF
	v_perm_b32 v208, v177, v176, s63                           // 000000004E70: D1ED00D0 00FF61B1
	v_perm_b32 v209, v177, v176, s64                           // 000000004E78: D1ED00D1 010361B1
	v_perm_b32 v210, v179, v178, s63                           // 000000004E80: D1ED00D2 00FF65B3
	v_perm_b32 v211, v179, v178, s64                           // 000000004E88: D1ED00D3 010365B3
	v_perm_b32 v212, v181, v180, s63                           // 000000004E90: D1ED00D4 00FF69B5
	v_perm_b32 v213, v181, v180, s64                           // 000000004E98: D1ED00D5 010369B5
	v_perm_b32 v214, v183, v182, s63                           // 000000004EA0: D1ED00D6 00FF6DB7
	v_perm_b32 v215, v183, v182, s64                           // 000000004EA8: D1ED00D7 01036DB7
	ds_write_b32 v13, v200 offset:17408                        // 000000004EB0: D81A4400 0000C80D
	ds_write_b32 v13, v201 offset:18464                        // 000000004EB8: D81A4820 0000C90D
	ds_write_b32 v13, v202 offset:17536                        // 000000004EC0: D81A4480 0000CA0D
	ds_write_b32 v13, v203 offset:18592                        // 000000004EC8: D81A48A0 0000CB0D
	ds_write_b32 v13, v204 offset:21760                        // 000000004ED0: D81A5500 0000CC0D
	ds_write_b32 v13, v205 offset:22816                        // 000000004ED8: D81A5920 0000CD0D
	ds_write_b32 v13, v206 offset:21888                        // 000000004EE0: D81A5580 0000CE0D
	ds_write_b32 v13, v207 offset:22944                        // 000000004EE8: D81A59A0 0000CF0D
	ds_write_b32 v13, v208 offset:26112                        // 000000004EF0: D81A6600 0000D00D
	ds_write_b32 v13, v209 offset:27168                        // 000000004EF8: D81A6A20 0000D10D
	ds_write_b32 v13, v210 offset:26240                        // 000000004F00: D81A6680 0000D20D
	ds_write_b32 v13, v211 offset:27296                        // 000000004F08: D81A6AA0 0000D30D
	ds_write_b32 v13, v212 offset:30464                        // 000000004F10: D81A7700 0000D40D
	ds_write_b32 v13, v213 offset:31520                        // 000000004F18: D81A7B20 0000D50D
	ds_write_b32 v13, v214 offset:30592                        // 000000004F20: D81A7780 0000D60D
	ds_write_b32 v13, v215 offset:31648                        // 000000004F28: D81A7BA0 0000D70D
	ds_write_b32 v11, v168                                     // 000000004F30: D81A0000 0000A80B
	ds_write_b32 v11, v169 offset:1056                         // 000000004F38: D81A0420 0000A90B
	ds_write_b32 v11, v170 offset:128                          // 000000004F40: D81A0080 0000AA0B
	ds_write_b32 v11, v171 offset:1184                         // 000000004F48: D81A04A0 0000AB0B
	ds_write_b32 v11, v172 offset:4352                         // 000000004F50: D81A1100 0000AC0B
	ds_write_b32 v11, v173 offset:5408                         // 000000004F58: D81A1520 0000AD0B
	ds_write_b32 v11, v174 offset:4480                         // 000000004F60: D81A1180 0000AE0B
	ds_write_b32 v11, v175 offset:5536                         // 000000004F68: D81A15A0 0000AF0B
	ds_write_b32 v11, v176 offset:8704                         // 000000004F70: D81A2200 0000B00B
	ds_write_b32 v11, v177 offset:9760                         // 000000004F78: D81A2620 0000B10B
	ds_write_b32 v11, v178 offset:8832                         // 000000004F80: D81A2280 0000B20B
	ds_write_b32 v11, v179 offset:9888                         // 000000004F88: D81A26A0 0000B30B
	ds_write_b32 v11, v180 offset:13056                        // 000000004F90: D81A3300 0000B40B
	ds_write_b32 v11, v181 offset:14112                        // 000000004F98: D81A3720 0000B50B
	ds_write_b32 v11, v182 offset:13184                        // 000000004FA0: D81A3380 0000B60B
	ds_write_b32 v11, v183 offset:14240                        // 000000004FA8: D81A37A0 0000B70B
	buffer_load_dword v168, v252, s[16:19], 0 idxen            // 000000004FB0: E0502000 8004A8FC
	buffer_load_dword v169, v253, s[16:19], 0 idxen            // 000000004FB8: E0502000 8004A9FD
	buffer_load_dword v170, v254, s[16:19], 0 idxen            // 000000004FC0: E0502000 8004AAFE
	buffer_load_dword v171, v255, s[16:19], 0 idxen            // 000000004FC8: E0502000 8004ABFF
	s_mul_i32 s60, 4, s7                                       // 000000004FD0: 923C0784
	s_cmp_lt_i32 1, s73                                        // 000000004FD4: BF044981
	s_cselect_b32 s60, s60, 0                                  // 000000004FD8: 853C803C
	v_add_u32_e32 v252, s60, v252                              // 000000004FDC: 69F9F83C
	v_add_u32_e32 v253, s60, v253                              // 000000004FE0: 69FBFA3C
	v_add_u32_e32 v254, s60, v254                              // 000000004FE4: 69FDFC3C
	v_add_u32_e32 v255, s60, v255                              // 000000004FE8: 69FFFE3C
	buffer_load_dword v172, v252, s[16:19], 0 idxen            // 000000004FEC: E0502000 8004ACFC
	buffer_load_dword v173, v253, s[16:19], 0 idxen            // 000000004FF4: E0502000 8004ADFD
	buffer_load_dword v174, v254, s[16:19], 0 idxen            // 000000004FFC: E0502000 8004AEFE
	buffer_load_dword v175, v255, s[16:19], 0 idxen            // 000000005004: E0502000 8004AFFF
	s_mul_i32 s60, 4, s7                                       // 00000000500C: 923C0784
	s_cmp_lt_i32 1, s73                                        // 000000005010: BF044981
	s_cselect_b32 s60, s60, 0                                  // 000000005014: 853C803C
	v_add_u32_e32 v252, s60, v252                              // 000000005018: 69F9F83C
	v_add_u32_e32 v253, s60, v253                              // 00000000501C: 69FBFA3C
	v_add_u32_e32 v254, s60, v254                              // 000000005020: 69FDFC3C
	v_add_u32_e32 v255, s60, v255                              // 000000005024: 69FFFE3C
	buffer_load_dword v176, v252, s[16:19], 0 idxen            // 000000005028: E0502000 8004B0FC
	buffer_load_dword v177, v253, s[16:19], 0 idxen            // 000000005030: E0502000 8004B1FD
	buffer_load_dword v178, v254, s[16:19], 0 idxen            // 000000005038: E0502000 8004B2FE
	buffer_load_dword v179, v255, s[16:19], 0 idxen            // 000000005040: E0502000 8004B3FF
	s_mul_i32 s60, 4, s7                                       // 000000005048: 923C0784
	s_cmp_lt_i32 1, s73                                        // 00000000504C: BF044981
	s_cselect_b32 s60, s60, 0                                  // 000000005050: 853C803C
	v_add_u32_e32 v252, s60, v252                              // 000000005054: 69F9F83C
	v_add_u32_e32 v253, s60, v253                              // 000000005058: 69FBFA3C
	v_add_u32_e32 v254, s60, v254                              // 00000000505C: 69FDFC3C
	v_add_u32_e32 v255, s60, v255                              // 000000005060: 69FFFE3C
	buffer_load_dword v180, v252, s[16:19], 0 idxen            // 000000005064: E0502000 8004B4FC
	buffer_load_dword v181, v253, s[16:19], 0 idxen            // 00000000506C: E0502000 8004B5FD
	buffer_load_dword v182, v254, s[16:19], 0 idxen            // 000000005074: E0502000 8004B6FE
	buffer_load_dword v183, v255, s[16:19], 0 idxen            // 00000000507C: E0502000 8004B7FF
	s_mul_i32 s60, 4, s7                                       // 000000005084: 923C0784
	s_cmp_lt_i32 2, s73                                        // 000000005088: BF044982
	s_cselect_b32 s60, s60, 0                                  // 00000000508C: 853C803C
	v_add_u32_e32 v252, s60, v252                              // 000000005090: 69F9F83C
	v_add_u32_e32 v253, s60, v253                              // 000000005094: 69FBFA3C
	v_add_u32_e32 v254, s60, v254                              // 000000005098: 69FDFC3C
	v_add_u32_e32 v255, s60, v255                              // 00000000509C: 69FFFE3C
	s_waitcnt lgkmcnt(0)                                       // 0000000050A0: BF8CC07F
	s_barrier                                                  // 0000000050A4: BF8A0000
	ds_read_b128 a[64:67], v23 offset:17408                    // 0000000050A8: DBFE4400 40000017
	ds_read_b128 a[68:71], v23 offset:17664                    // 0000000050B0: DBFE4500 44000017
	ds_read_b128 a[72:75], v23 offset:26112                    // 0000000050B8: DBFE6600 48000017
	ds_read_b128 a[76:79], v23 offset:26368                    // 0000000050C0: DBFE6700 4C000017
	ds_read_b128 a[16:19], v22                                 // 0000000050C8: DBFE0000 10000016
	ds_read_b128 a[20:23], v22 offset:512                      // 0000000050D0: DBFE0200 14000016
	ds_read_b128 a[24:27], v22 offset:2176                     // 0000000050D8: DBFE0880 18000016
	ds_read_b128 a[28:31], v22 offset:2688                     // 0000000050E0: DBFE0A80 1C000016
	s_waitcnt vmcnt(32) lgkmcnt(0)                             // 0000000050E8: BF8C8070
	s_barrier                                                  // 0000000050EC: BF8A0000
	s_cmp_lt_i32 2, s73                                        // 0000000050F0: BF044982
	s_cbranch_scc1 label_04CE                                  // 0000000050F4: BF850010
	v_mov_b32_e32 v184, 0                                      // 0000000050F8: 7F700280
	v_mov_b32_e32 v185, 0                                      // 0000000050FC: 7F720280
	v_mov_b32_e32 v186, 0                                      // 000000005100: 7F740280
	v_mov_b32_e32 v187, 0                                      // 000000005104: 7F760280
	v_mov_b32_e32 v188, 0                                      // 000000005108: 7F780280
	v_mov_b32_e32 v189, 0                                      // 00000000510C: 7F7A0280
	v_mov_b32_e32 v190, 0                                      // 000000005110: 7F7C0280
	v_mov_b32_e32 v191, 0                                      // 000000005114: 7F7E0280
	v_mov_b32_e32 v192, 0                                      // 000000005118: 7F800280
	v_mov_b32_e32 v193, 0                                      // 00000000511C: 7F820280
	v_mov_b32_e32 v194, 0                                      // 000000005120: 7F840280
	v_mov_b32_e32 v195, 0                                      // 000000005124: 7F860280
	v_mov_b32_e32 v196, 0                                      // 000000005128: 7F880280
	v_mov_b32_e32 v197, 0                                      // 00000000512C: 7F8A0280
	v_mov_b32_e32 v198, 0                                      // 000000005130: 7F8C0280
	v_mov_b32_e32 v199, 0                                      // 000000005134: 7F8E0280

0000000000005138 <label_04CE>:
	v_perm_b32 v200, v185, v184, s63                           // 000000005138: D1ED00C8 00FF71B9
	v_perm_b32 v201, v185, v184, s64                           // 000000005140: D1ED00C9 010371B9
	v_perm_b32 v202, v187, v186, s63                           // 000000005148: D1ED00CA 00FF75BB
	v_perm_b32 v203, v187, v186, s64                           // 000000005150: D1ED00CB 010375BB
	v_perm_b32 v204, v189, v188, s63                           // 000000005158: D1ED00CC 00FF79BD
	v_perm_b32 v205, v189, v188, s64                           // 000000005160: D1ED00CD 010379BD
	v_perm_b32 v206, v191, v190, s63                           // 000000005168: D1ED00CE 00FF7DBF
	v_perm_b32 v207, v191, v190, s64                           // 000000005170: D1ED00CF 01037DBF
	v_perm_b32 v208, v193, v192, s63                           // 000000005178: D1ED00D0 00FF81C1
	v_perm_b32 v209, v193, v192, s64                           // 000000005180: D1ED00D1 010381C1
	v_perm_b32 v210, v195, v194, s63                           // 000000005188: D1ED00D2 00FF85C3
	v_perm_b32 v211, v195, v194, s64                           // 000000005190: D1ED00D3 010385C3
	v_perm_b32 v212, v197, v196, s63                           // 000000005198: D1ED00D4 00FF89C5
	v_perm_b32 v213, v197, v196, s64                           // 0000000051A0: D1ED00D5 010389C5
	v_perm_b32 v214, v199, v198, s63                           // 0000000051A8: D1ED00D6 00FF8DC7
	v_perm_b32 v215, v199, v198, s64                           // 0000000051B0: D1ED00D7 01038DC7
	ds_write_b32 v13, v200 offset:17408                        // 0000000051B8: D81A4400 0000C80D
	ds_write_b32 v13, v201 offset:18464                        // 0000000051C0: D81A4820 0000C90D
	ds_write_b32 v13, v202 offset:17536                        // 0000000051C8: D81A4480 0000CA0D
	ds_write_b32 v13, v203 offset:18592                        // 0000000051D0: D81A48A0 0000CB0D
	ds_write_b32 v13, v204 offset:21760                        // 0000000051D8: D81A5500 0000CC0D
	ds_write_b32 v13, v205 offset:22816                        // 0000000051E0: D81A5920 0000CD0D
	ds_write_b32 v13, v206 offset:21888                        // 0000000051E8: D81A5580 0000CE0D
	ds_write_b32 v13, v207 offset:22944                        // 0000000051F0: D81A59A0 0000CF0D
	ds_write_b32 v13, v208 offset:26112                        // 0000000051F8: D81A6600 0000D00D
	ds_write_b32 v13, v209 offset:27168                        // 000000005200: D81A6A20 0000D10D
	ds_write_b32 v13, v210 offset:26240                        // 000000005208: D81A6680 0000D20D
	ds_write_b32 v13, v211 offset:27296                        // 000000005210: D81A6AA0 0000D30D
	ds_write_b32 v13, v212 offset:30464                        // 000000005218: D81A7700 0000D40D
	ds_write_b32 v13, v213 offset:31520                        // 000000005220: D81A7B20 0000D50D
	ds_write_b32 v13, v214 offset:30592                        // 000000005228: D81A7780 0000D60D
	ds_write_b32 v13, v215 offset:31648                        // 000000005230: D81A7BA0 0000D70D
	ds_write_b32 v11, v184                                     // 000000005238: D81A0000 0000B80B
	ds_write_b32 v11, v185 offset:1056                         // 000000005240: D81A0420 0000B90B
	ds_write_b32 v11, v186 offset:128                          // 000000005248: D81A0080 0000BA0B
	ds_write_b32 v11, v187 offset:1184                         // 000000005250: D81A04A0 0000BB0B
	ds_write_b32 v11, v188 offset:4352                         // 000000005258: D81A1100 0000BC0B
	ds_write_b32 v11, v189 offset:5408                         // 000000005260: D81A1520 0000BD0B
	ds_write_b32 v11, v190 offset:4480                         // 000000005268: D81A1180 0000BE0B
	ds_write_b32 v11, v191 offset:5536                         // 000000005270: D81A15A0 0000BF0B
	ds_write_b32 v11, v192 offset:8704                         // 000000005278: D81A2200 0000C00B
	ds_write_b32 v11, v193 offset:9760                         // 000000005280: D81A2620 0000C10B
	ds_write_b32 v11, v194 offset:8832                         // 000000005288: D81A2280 0000C20B
	ds_write_b32 v11, v195 offset:9888                         // 000000005290: D81A26A0 0000C30B
	ds_write_b32 v11, v196 offset:13056                        // 000000005298: D81A3300 0000C40B
	ds_write_b32 v11, v197 offset:14112                        // 0000000052A0: D81A3720 0000C50B
	ds_write_b32 v11, v198 offset:13184                        // 0000000052A8: D81A3380 0000C60B
	ds_write_b32 v11, v199 offset:14240                        // 0000000052B0: D81A37A0 0000C70B
	buffer_load_dword v184, v252, s[16:19], 0 idxen            // 0000000052B8: E0502000 8004B8FC
	buffer_load_dword v185, v253, s[16:19], 0 idxen            // 0000000052C0: E0502000 8004B9FD
	buffer_load_dword v186, v254, s[16:19], 0 idxen            // 0000000052C8: E0502000 8004BAFE
	buffer_load_dword v187, v255, s[16:19], 0 idxen            // 0000000052D0: E0502000 8004BBFF
	s_mul_i32 s60, 4, s7                                       // 0000000052D8: 923C0784
	s_cmp_lt_i32 2, s73                                        // 0000000052DC: BF044982
	s_cselect_b32 s60, s60, 0                                  // 0000000052E0: 853C803C
	v_add_u32_e32 v252, s60, v252                              // 0000000052E4: 69F9F83C
	v_add_u32_e32 v253, s60, v253                              // 0000000052E8: 69FBFA3C
	v_add_u32_e32 v254, s60, v254                              // 0000000052EC: 69FDFC3C
	v_add_u32_e32 v255, s60, v255                              // 0000000052F0: 69FFFE3C
	buffer_load_dword v188, v252, s[16:19], 0 idxen            // 0000000052F4: E0502000 8004BCFC
	buffer_load_dword v189, v253, s[16:19], 0 idxen            // 0000000052FC: E0502000 8004BDFD
	buffer_load_dword v190, v254, s[16:19], 0 idxen            // 000000005304: E0502000 8004BEFE
	buffer_load_dword v191, v255, s[16:19], 0 idxen            // 00000000530C: E0502000 8004BFFF
	s_mul_i32 s60, 4, s7                                       // 000000005314: 923C0784
	s_cmp_lt_i32 2, s73                                        // 000000005318: BF044982
	s_cselect_b32 s60, s60, 0                                  // 00000000531C: 853C803C
	v_add_u32_e32 v252, s60, v252                              // 000000005320: 69F9F83C
	v_add_u32_e32 v253, s60, v253                              // 000000005324: 69FBFA3C
	v_add_u32_e32 v254, s60, v254                              // 000000005328: 69FDFC3C
	v_add_u32_e32 v255, s60, v255                              // 00000000532C: 69FFFE3C
	buffer_load_dword v192, v252, s[16:19], 0 idxen            // 000000005330: E0502000 8004C0FC
	buffer_load_dword v193, v253, s[16:19], 0 idxen            // 000000005338: E0502000 8004C1FD
	buffer_load_dword v194, v254, s[16:19], 0 idxen            // 000000005340: E0502000 8004C2FE
	buffer_load_dword v195, v255, s[16:19], 0 idxen            // 000000005348: E0502000 8004C3FF
	s_mul_i32 s60, 4, s7                                       // 000000005350: 923C0784
	s_cmp_lt_i32 2, s73                                        // 000000005354: BF044982
	s_cselect_b32 s60, s60, 0                                  // 000000005358: 853C803C
	v_add_u32_e32 v252, s60, v252                              // 00000000535C: 69F9F83C
	v_add_u32_e32 v253, s60, v253                              // 000000005360: 69FBFA3C
	v_add_u32_e32 v254, s60, v254                              // 000000005364: 69FDFC3C
	v_add_u32_e32 v255, s60, v255                              // 000000005368: 69FFFE3C
	buffer_load_dword v196, v252, s[16:19], 0 idxen            // 00000000536C: E0502000 8004C4FC
	buffer_load_dword v197, v253, s[16:19], 0 idxen            // 000000005374: E0502000 8004C5FD
	buffer_load_dword v198, v254, s[16:19], 0 idxen            // 00000000537C: E0502000 8004C6FE
	buffer_load_dword v199, v255, s[16:19], 0 idxen            // 000000005384: E0502000 8004C7FF
	s_mul_i32 s60, 4, s7                                       // 00000000538C: 923C0784
	s_cmp_lt_i32 3, s73                                        // 000000005390: BF044983
	s_cselect_b32 s60, s60, 0                                  // 000000005394: 853C803C
	v_add_u32_e32 v252, s60, v252                              // 000000005398: 69F9F83C
	v_add_u32_e32 v253, s60, v253                              // 00000000539C: 69FBFA3C
	v_add_u32_e32 v254, s60, v254                              // 0000000053A0: 69FDFC3C
	v_add_u32_e32 v255, s60, v255                              // 0000000053A4: 69FFFE3C
	s_waitcnt lgkmcnt(0)                                       // 0000000053A8: BF8CC07F
	s_barrier                                                  // 0000000053AC: BF8A0000
	ds_read_b128 a[80:83], v23 offset:17408                    // 0000000053B0: DBFE4400 50000017
	ds_read_b128 a[84:87], v23 offset:17664                    // 0000000053B8: DBFE4500 54000017
	ds_read_b128 a[88:91], v23 offset:26112                    // 0000000053C0: DBFE6600 58000017
	ds_read_b128 a[92:95], v23 offset:26368                    // 0000000053C8: DBFE6700 5C000017
	ds_read_b128 a[32:35], v22                                 // 0000000053D0: DBFE0000 20000016
	ds_read_b128 a[36:39], v22 offset:512                      // 0000000053D8: DBFE0200 24000016
	ds_read_b128 a[40:43], v22 offset:2176                     // 0000000053E0: DBFE0880 28000016
	ds_read_b128 a[44:47], v22 offset:2688                     // 0000000053E8: DBFE0A80 2C000016
	s_waitcnt vmcnt(32) lgkmcnt(0)                             // 0000000053F0: BF8C8070
	s_barrier                                                  // 0000000053F4: BF8A0000
	s_cmp_lt_i32 0, s73                                        // 0000000053F8: BF044980
	s_cbranch_scc1 label_0590                                  // 0000000053FC: BF850010
	v_mov_b32_e32 v152, 0                                      // 000000005400: 7F300280
	v_mov_b32_e32 v153, 0                                      // 000000005404: 7F320280
	v_mov_b32_e32 v154, 0                                      // 000000005408: 7F340280
	v_mov_b32_e32 v155, 0                                      // 00000000540C: 7F360280
	v_mov_b32_e32 v156, 0                                      // 000000005410: 7F380280
	v_mov_b32_e32 v157, 0                                      // 000000005414: 7F3A0280
	v_mov_b32_e32 v158, 0                                      // 000000005418: 7F3C0280
	v_mov_b32_e32 v159, 0                                      // 00000000541C: 7F3E0280
	v_mov_b32_e32 v160, 0                                      // 000000005420: 7F400280
	v_mov_b32_e32 v161, 0                                      // 000000005424: 7F420280
	v_mov_b32_e32 v162, 0                                      // 000000005428: 7F440280
	v_mov_b32_e32 v163, 0                                      // 00000000542C: 7F460280
	v_mov_b32_e32 v164, 0                                      // 000000005430: 7F480280
	v_mov_b32_e32 v165, 0                                      // 000000005434: 7F4A0280
	v_mov_b32_e32 v166, 0                                      // 000000005438: 7F4C0280
	v_mov_b32_e32 v167, 0                                      // 00000000543C: 7F4E0280

0000000000005440 <label_0590>:
	ds_write_b32 v11, v152                                     // 000000005440: D81A0000 0000980B
	ds_write_b32 v11, v153 offset:1056                         // 000000005448: D81A0420 0000990B
	ds_write_b32 v11, v154 offset:128                          // 000000005450: D81A0080 00009A0B
	ds_write_b32 v11, v155 offset:1184                         // 000000005458: D81A04A0 00009B0B
	ds_write_b32 v11, v156 offset:4352                         // 000000005460: D81A1100 00009C0B
	ds_write_b32 v11, v157 offset:5408                         // 000000005468: D81A1520 00009D0B
	ds_write_b32 v11, v158 offset:4480                         // 000000005470: D81A1180 00009E0B
	ds_write_b32 v11, v159 offset:5536                         // 000000005478: D81A15A0 00009F0B
	ds_write_b32 v11, v160 offset:8704                         // 000000005480: D81A2200 0000A00B
	ds_write_b32 v11, v161 offset:9760                         // 000000005488: D81A2620 0000A10B
	ds_write_b32 v11, v162 offset:8832                         // 000000005490: D81A2280 0000A20B
	ds_write_b32 v11, v163 offset:9888                         // 000000005498: D81A26A0 0000A30B
	ds_write_b32 v11, v164 offset:13056                        // 0000000054A0: D81A3300 0000A40B
	ds_write_b32 v11, v165 offset:14112                        // 0000000054A8: D81A3720 0000A50B
	ds_write_b32 v11, v166 offset:13184                        // 0000000054B0: D81A3380 0000A60B
	ds_write_b32 v11, v167 offset:14240                        // 0000000054B8: D81A37A0 0000A70B
	s_mov_b32 s71, s5                                          // 0000000054C0: BEC70005
	v_lshrrev_b32_e32 v28, 4, v0                               // 0000000054C4: 20380084
	v_and_b32_e32 v29, 1, v28                                  // 0000000054C8: 263A3881
	v_lshlrev_b32_e32 v29, 1, v29                              // 0000000054CC: 243A3A81
	v_mul_i32_i24_e32 v29, s71, v29                            // 0000000054D0: 0C3A3A47
	v_and_b32_e32 v30, 2, v28                                  // 0000000054D4: 263C3882
	v_lshlrev_b32_e32 v30, 5, v30                              // 0000000054D8: 243C3C85
	v_add_u32_e32 v29, v30, v29                                // 0000000054DC: 683A3B1E
	v_and_b32_e32 v28, 15, v0                                  // 0000000054E0: 2638008F
	v_lshlrev_b32_e32 v28, 2, v28                              // 0000000054E4: 24383882
	v_add_u32_e32 v1, v28, v29                                 // 0000000054E8: 68023B1C
	s_and_b32 s60, 1, s46                                      // 0000000054EC: 863C2E81
	s_mul_i32 s60, s60, s71                                    // 0000000054F0: 923C473C
	s_mul_i32 s60, s60, 8                                      // 0000000054F4: 923C883C
	s_lshr_b32 s61, s46, 1                                     // 0000000054F8: 8F3D812E
	s_mul_i32 s61, s61, 0x80                                   // 0000000054FC: 923DFF3D 00000080
	s_add_u32 s60, s60, s61                                    // 000000005504: 803C3D3C
	v_add_u32_e32 v1, s60, v1                                  // 000000005508: 6802023C
	v_add_u32_e32 v2, s71, v1                                  // 00000000550C: 68040247
	s_mul_i32 s60, 4, s71                                      // 000000005510: 923C4784
	v_add_u32_e32 v3, s60, v1                                  // 000000005514: 6806023C
	v_add_u32_e32 v4, s60, v2                                  // 000000005518: 6808043C
	s_mov_b32 s71, s51                                         // 00000000551C: BEC70033
	v_lshrrev_b32_e32 v28, 4, v0                               // 000000005520: 20380084
	v_and_b32_e32 v29, 1, v28                                  // 000000005524: 263A3881
	v_lshlrev_b32_e32 v29, 1, v29                              // 000000005528: 243A3A81
	v_mul_i32_i24_e32 v29, s71, v29                            // 00000000552C: 0C3A3A47
	v_and_b32_e32 v30, 2, v28                                  // 000000005530: 263C3882
	v_lshlrev_b32_e32 v30, 5, v30                              // 000000005534: 243C3C85
	v_add_u32_e32 v29, v30, v29                                // 000000005538: 683A3B1E
	v_and_b32_e32 v28, 15, v0                                  // 00000000553C: 2638008F
	v_lshlrev_b32_e32 v28, 2, v28                              // 000000005540: 24383882
	v_add_u32_e32 v252, v28, v29                               // 000000005544: 69F83B1C
	s_and_b32 s60, 1, s46                                      // 000000005548: 863C2E81
	s_mul_i32 s60, s60, s71                                    // 00000000554C: 923C473C
	s_mul_i32 s60, s60, 8                                      // 000000005550: 923C883C
	s_lshr_b32 s61, s46, 1                                     // 000000005554: 8F3D812E
	s_mul_i32 s61, s61, 0x80                                   // 000000005558: 923DFF3D 00000080
	s_add_u32 s60, s60, s61                                    // 000000005560: 803C3D3C
	v_add_u32_e32 v252, s60, v252                              // 000000005564: 69F9F83C
	v_add_u32_e32 v253, s71, v252                              // 000000005568: 69FBF847
	s_mul_i32 s60, 4, s71                                      // 00000000556C: 923C4784
	v_add_u32_e32 v254, s60, v252                              // 000000005570: 69FDF83C
	v_add_u32_e32 v255, s60, v253                              // 000000005574: 69FFFA3C
	v_lshrrev_b32_e32 v1, 2, v1                                // 000000005578: 20020282
	v_lshrrev_b32_e32 v2, 2, v2                                // 00000000557C: 20040482
	v_lshrrev_b32_e32 v3, 2, v3                                // 000000005580: 20060682
	v_lshrrev_b32_e32 v4, 2, v4                                // 000000005584: 20080882
	v_lshrrev_b32_e32 v252, 2, v252                            // 000000005588: 21F9F882
	v_lshrrev_b32_e32 v253, 2, v253                            // 00000000558C: 21FBFA82
	v_lshrrev_b32_e32 v254, 2, v254                            // 000000005590: 21FDFC82
	v_lshrrev_b32_e32 v255, 2, v255                            // 000000005594: 21FFFE82
	buffer_load_dword v32, v1, s[8:11], 0 idxen                // 000000005598: E0502000 80022001
	buffer_load_dword v33, v2, s[8:11], 0 idxen                // 0000000055A0: E0502000 80022102
	buffer_load_dword v34, v3, s[8:11], 0 idxen                // 0000000055A8: E0502000 80022203
	buffer_load_dword v35, v4, s[8:11], 0 idxen                // 0000000055B0: E0502000 80022304
	buffer_load_dword v40, v252, s[20:23], 0 idxen             // 0000000055B8: E0502000 800528FC
	buffer_load_dword v41, v253, s[20:23], 0 idxen             // 0000000055C0: E0502000 800529FD
	buffer_load_dword v42, v254, s[20:23], 0 idxen             // 0000000055C8: E0502000 80052AFE
	buffer_load_dword v43, v255, s[20:23], 0 idxen             // 0000000055D0: E0502000 80052BFF
	s_waitcnt lgkmcnt(0)                                       // 0000000055D8: BF8CC07F
	s_barrier                                                  // 0000000055DC: BF8A0000
	ds_read_b128 a[96:99], v22                                 // 0000000055E0: DBFE0000 60000016
	ds_read_b128 a[100:103], v22 offset:512                    // 0000000055E8: DBFE0200 64000016
	ds_read_b128 a[104:107], v22 offset:2176                   // 0000000055F0: DBFE0880 68000016
	ds_read_b128 a[108:111], v22 offset:2688                   // 0000000055F8: DBFE0A80 6C000016
	v_add_u32_e32 v1, s68, v1                                  // 000000005600: 68020244
	v_add_u32_e32 v2, s68, v2                                  // 000000005604: 68040444
	;; [unrolled: 1-line block ×3, first 2 shown]
	v_add_u32_e32 v4, s68, v4                                  // 00000000560C: 68080844
	v_add_u32_e32 v252, s101, v252                             // 000000005610: 69F9F865
	v_add_u32_e32 v253, s101, v253                             // 000000005614: 69FBFA65
	v_add_u32_e32 v254, s101, v254                             // 000000005618: 69FDFC65
	v_add_u32_e32 v255, s101, v255                             // 00000000561C: 69FFFE65
	s_waitcnt vmcnt(24) lgkmcnt(0)                             // 000000005620: BF8C4078
	s_barrier                                                  // 000000005624: BF8A0000
	s_cmp_lt_i32 1, s73                                        // 000000005628: BF044981
	s_cbranch_scc1 label_061C                                  // 00000000562C: BF850010
	v_mov_b32_e32 v168, 0                                      // 000000005630: 7F500280
	v_mov_b32_e32 v169, 0                                      // 000000005634: 7F520280
	v_mov_b32_e32 v170, 0                                      // 000000005638: 7F540280
	v_mov_b32_e32 v171, 0                                      // 00000000563C: 7F560280
	v_mov_b32_e32 v172, 0                                      // 000000005640: 7F580280
	v_mov_b32_e32 v173, 0                                      // 000000005644: 7F5A0280
	v_mov_b32_e32 v174, 0                                      // 000000005648: 7F5C0280
	v_mov_b32_e32 v175, 0                                      // 00000000564C: 7F5E0280
	v_mov_b32_e32 v176, 0                                      // 000000005650: 7F600280
	v_mov_b32_e32 v177, 0                                      // 000000005654: 7F620280
	v_mov_b32_e32 v178, 0                                      // 000000005658: 7F640280
	v_mov_b32_e32 v179, 0                                      // 00000000565C: 7F660280
	v_mov_b32_e32 v180, 0                                      // 000000005660: 7F680280
	v_mov_b32_e32 v181, 0                                      // 000000005664: 7F6A0280
	v_mov_b32_e32 v182, 0                                      // 000000005668: 7F6C0280
	v_mov_b32_e32 v183, 0                                      // 00000000566C: 7F6E0280

0000000000005670 <label_061C>:
	ds_write_b32 v11, v168                                     // 000000005670: D81A0000 0000A80B
	ds_write_b32 v11, v169 offset:1056                         // 000000005678: D81A0420 0000A90B
	ds_write_b32 v11, v170 offset:128                          // 000000005680: D81A0080 0000AA0B
	ds_write_b32 v11, v171 offset:1184                         // 000000005688: D81A04A0 0000AB0B
	ds_write_b32 v11, v172 offset:4352                         // 000000005690: D81A1100 0000AC0B
	ds_write_b32 v11, v173 offset:5408                         // 000000005698: D81A1520 0000AD0B
	ds_write_b32 v11, v174 offset:4480                         // 0000000056A0: D81A1180 0000AE0B
	ds_write_b32 v11, v175 offset:5536                         // 0000000056A8: D81A15A0 0000AF0B
	ds_write_b32 v11, v176 offset:8704                         // 0000000056B0: D81A2200 0000B00B
	ds_write_b32 v11, v177 offset:9760                         // 0000000056B8: D81A2620 0000B10B
	ds_write_b32 v11, v178 offset:8832                         // 0000000056C0: D81A2280 0000B20B
	ds_write_b32 v11, v179 offset:9888                         // 0000000056C8: D81A26A0 0000B30B
	ds_write_b32 v11, v180 offset:13056                        // 0000000056D0: D81A3300 0000B40B
	ds_write_b32 v11, v181 offset:14112                        // 0000000056D8: D81A3720 0000B50B
	ds_write_b32 v11, v182 offset:13184                        // 0000000056E0: D81A3380 0000B60B
	ds_write_b32 v11, v183 offset:14240                        // 0000000056E8: D81A37A0 0000B70B
	buffer_load_dword v36, v1, s[8:11], 0 idxen                // 0000000056F0: E0502000 80022401
	buffer_load_dword v37, v2, s[8:11], 0 idxen                // 0000000056F8: E0502000 80022502
	buffer_load_dword v38, v3, s[8:11], 0 idxen                // 000000005700: E0502000 80022603
	buffer_load_dword v39, v4, s[8:11], 0 idxen                // 000000005708: E0502000 80022704
	buffer_load_dword v44, v252, s[20:23], 0 idxen             // 000000005710: E0502000 80052CFC
	buffer_load_dword v45, v253, s[20:23], 0 idxen             // 000000005718: E0502000 80052DFD
	buffer_load_dword v46, v254, s[20:23], 0 idxen             // 000000005720: E0502000 80052EFE
	buffer_load_dword v47, v255, s[20:23], 0 idxen             // 000000005728: E0502000 80052FFF
	s_waitcnt lgkmcnt(0)                                       // 000000005730: BF8CC07F
	s_barrier                                                  // 000000005734: BF8A0000
	ds_read_b128 a[112:115], v22                               // 000000005738: DBFE0000 70000016
	ds_read_b128 a[116:119], v22 offset:512                    // 000000005740: DBFE0200 74000016
	ds_read_b128 a[120:123], v22 offset:2176                   // 000000005748: DBFE0880 78000016
	ds_read_b128 a[124:127], v22 offset:2688                   // 000000005750: DBFE0A80 7C000016
	v_add_u32_e32 v1, s68, v1                                  // 000000005758: 68020244
	v_add_u32_e32 v2, s68, v2                                  // 00000000575C: 68040444
	v_add_u32_e32 v3, s68, v3                                  // 000000005760: 68060644
	v_add_u32_e32 v4, s68, v4                                  // 000000005764: 68080844
	v_add_u32_e32 v252, s101, v252                             // 000000005768: 69F9F865
	v_add_u32_e32 v253, s101, v253                             // 00000000576C: 69FBFA65
	v_add_u32_e32 v254, s101, v254                             // 000000005770: 69FDFC65
	v_add_u32_e32 v255, s101, v255                             // 000000005774: 69FFFE65
	s_waitcnt vmcnt(16) lgkmcnt(0)                             // 000000005778: BF8C4070
	s_barrier                                                  // 00000000577C: BF8A0000
	s_cmp_lt_i32 2, s73                                        // 000000005780: BF044982
	s_cbranch_scc1 label_0672                                  // 000000005784: BF850010
	v_mov_b32_e32 v184, 0                                      // 000000005788: 7F700280
	v_mov_b32_e32 v185, 0                                      // 00000000578C: 7F720280
	v_mov_b32_e32 v186, 0                                      // 000000005790: 7F740280
	v_mov_b32_e32 v187, 0                                      // 000000005794: 7F760280
	v_mov_b32_e32 v188, 0                                      // 000000005798: 7F780280
	v_mov_b32_e32 v189, 0                                      // 00000000579C: 7F7A0280
	v_mov_b32_e32 v190, 0                                      // 0000000057A0: 7F7C0280
	v_mov_b32_e32 v191, 0                                      // 0000000057A4: 7F7E0280
	v_mov_b32_e32 v192, 0                                      // 0000000057A8: 7F800280
	v_mov_b32_e32 v193, 0                                      // 0000000057AC: 7F820280
	v_mov_b32_e32 v194, 0                                      // 0000000057B0: 7F840280
	v_mov_b32_e32 v195, 0                                      // 0000000057B4: 7F860280
	v_mov_b32_e32 v196, 0                                      // 0000000057B8: 7F880280
	v_mov_b32_e32 v197, 0                                      // 0000000057BC: 7F8A0280
	v_mov_b32_e32 v198, 0                                      // 0000000057C0: 7F8C0280
	v_mov_b32_e32 v199, 0                                      // 0000000057C4: 7F8E0280

00000000000057c8 <label_0672>:
	ds_write_b32 v11, v184                                     // 0000000057C8: D81A0000 0000B80B
	ds_write_b32 v11, v185 offset:1056                         // 0000000057D0: D81A0420 0000B90B
	ds_write_b32 v11, v186 offset:128                          // 0000000057D8: D81A0080 0000BA0B
	ds_write_b32 v11, v187 offset:1184                         // 0000000057E0: D81A04A0 0000BB0B
	ds_write_b32 v11, v188 offset:4352                         // 0000000057E8: D81A1100 0000BC0B
	ds_write_b32 v11, v189 offset:5408                         // 0000000057F0: D81A1520 0000BD0B
	ds_write_b32 v11, v190 offset:4480                         // 0000000057F8: D81A1180 0000BE0B
	ds_write_b32 v11, v191 offset:5536                         // 000000005800: D81A15A0 0000BF0B
	ds_write_b32 v11, v192 offset:8704                         // 000000005808: D81A2200 0000C00B
	ds_write_b32 v11, v193 offset:9760                         // 000000005810: D81A2620 0000C10B
	ds_write_b32 v11, v194 offset:8832                         // 000000005818: D81A2280 0000C20B
	ds_write_b32 v11, v195 offset:9888                         // 000000005820: D81A26A0 0000C30B
	ds_write_b32 v11, v196 offset:13056                        // 000000005828: D81A3300 0000C40B
	ds_write_b32 v11, v197 offset:14112                        // 000000005830: D81A3720 0000C50B
	ds_write_b32 v11, v198 offset:13184                        // 000000005838: D81A3380 0000C60B
	ds_write_b32 v11, v199 offset:14240                        // 000000005840: D81A37A0 0000C70B
	s_waitcnt lgkmcnt(0)                                       // 000000005848: BF8CC07F
	s_barrier                                                  // 00000000584C: BF8A0000
	ds_read_b128 a[128:131], v22                               // 000000005850: DBFE0000 80000016
	ds_read_b128 a[132:135], v22 offset:512                    // 000000005858: DBFE0200 84000016
	ds_read_b128 a[136:139], v22 offset:2176                   // 000000005860: DBFE0880 88000016
	ds_read_b128 a[140:143], v22 offset:2688                   // 000000005868: DBFE0A80 8C000016
	s_waitcnt vmcnt(8) lgkmcnt(0)                              // 000000005870: BF8C0078
	s_barrier                                                  // 000000005874: BF8A0000
	buffer_load_dword v9, s[24:27], 0 idxen lds                // 000000005878: E0512000 80060009
	s_mov_b32 m0, s77                                          // 000000005880: BEFC004D
	v_add_u32_e32 v9, s69, v9                                  // 000000005884: 68121245
	v_perm_b32 v84, v33, v32, s63                              // 000000005888: D1ED0054 00FE4121
	v_perm_b32 v85, v33, v32, s64                              // 000000005890: D1ED0055 01024121
	v_perm_b32 v86, v35, v34, s63                              // 000000005898: D1ED0056 00FE4523
	v_perm_b32 v87, v35, v34, s64                              // 0000000058A0: D1ED0057 01024523
	ds_write_b32 v13, v84 offset:4352                          // 0000000058A8: D81A1100 0000540D
	ds_write_b32 v13, v85 offset:5408                          // 0000000058B0: D81A1520 0000550D
	ds_write_b32 v13, v86 offset:4480                          // 0000000058B8: D81A1180 0000560D
	ds_write_b32 v13, v87 offset:5536                          // 0000000058C0: D81A15A0 0000570D
	ds_write_b32 v11, v32                                      // 0000000058C8: D81A0000 0000200B
	ds_write_b32 v11, v33 offset:1056                          // 0000000058D0: D81A0420 0000210B
	ds_write_b32 v11, v34 offset:128                           // 0000000058D8: D81A0080 0000220B
	ds_write_b32 v11, v35 offset:1184                          // 0000000058E0: D81A04A0 0000230B
	buffer_load_dword v9, s[24:27], 0 idxen lds                // 0000000058E8: E0512000 80060009
	s_mov_b32 m0, s76                                          // 0000000058F0: BEFC004C
	v_add_u32_e32 v9, s69, v9                                  // 0000000058F4: 68121245
	v_perm_b32 v88, v41, v40, s63                              // 0000000058F8: D1ED0058 00FE5129
	v_perm_b32 v89, v41, v40, s64                              // 000000005900: D1ED0059 01025129
	v_perm_b32 v90, v43, v42, s63                              // 000000005908: D1ED005A 00FE552B
	v_perm_b32 v91, v43, v42, s64                              // 000000005910: D1ED005B 0102552B
	ds_write_b32 v13, v88 offset:13056                         // 000000005918: D81A3300 0000580D
	ds_write_b32 v13, v89 offset:14112                         // 000000005920: D81A3720 0000590D
	ds_write_b32 v13, v90 offset:13184                         // 000000005928: D81A3380 00005A0D
	ds_write_b32 v13, v91 offset:14240                         // 000000005930: D81A37A0 00005B0D
	ds_write_b32 v11, v40 offset:8704                          // 000000005938: D81A2200 0000280B
	ds_write_b32 v11, v41 offset:9760                          // 000000005940: D81A2620 0000290B
	ds_write_b32 v11, v42 offset:8832                          // 000000005948: D81A2280 00002A0B
	ds_write_b32 v11, v43 offset:9888                          // 000000005950: D81A26A0 00002B0B
	s_waitcnt vmcnt(1) lgkmcnt(0)                              // 000000005958: BF8C0071
	s_barrier                                                  // 00000000595C: BF8A0000
	ds_read_b128 a[144:147], v10                               // 000000005960: DBFE0000 9000000A
	ds_read_b128 a[148:151], v10 offset:512                    // 000000005968: DBFE0200 9400000A
	ds_read_b128 a[152:155], v10 offset:2176                   // 000000005970: DBFE0880 9800000A
	ds_read_b128 a[156:159], v10 offset:2688                   // 000000005978: DBFE0A80 9C00000A
	ds_read_b128 v[92:95], v10 offset:8704                     // 000000005980: D9FE2200 5C00000A
	ds_read_b128 v[96:99], v10 offset:9216                     // 000000005988: D9FE2400 6000000A
	ds_read_b128 v[100:103], v10 offset:10880                  // 000000005990: D9FE2A80 6400000A
	ds_read_b128 v[104:107], v10 offset:11392                  // 000000005998: D9FE2C80 6800000A
	ds_read_b32 v124, v21 offset:50688                         // 0000000059A0: D86CC600 7C000015
	ds_read_b32 v150, v21 offset:50944                         // 0000000059A8: D86CC700 96000015
	v_accvgpr_write_b32 a160, 0                                // 0000000059B0: D3D940A0 18000080
	v_mov_b32_e32 v152, 0                                      // 0000000059B8: 7F300280
	v_accvgpr_write_b32 a161, 0                                // 0000000059BC: D3D940A1 18000080
	v_mov_b32_e32 v153, 0                                      // 0000000059C4: 7F320280
	v_accvgpr_write_b32 a162, 0                                // 0000000059C8: D3D940A2 18000080
	v_mov_b32_e32 v154, 0                                      // 0000000059D0: 7F340280
	v_accvgpr_write_b32 a163, 0                                // 0000000059D4: D3D940A3 18000080
	v_mov_b32_e32 v155, 0                                      // 0000000059DC: 7F360280
	v_accvgpr_write_b32 a164, 0                                // 0000000059E0: D3D940A4 18000080
	v_mov_b32_e32 v156, 0                                      // 0000000059E8: 7F380280
	v_accvgpr_write_b32 a165, 0                                // 0000000059EC: D3D940A5 18000080
	v_mov_b32_e32 v157, 0                                      // 0000000059F4: 7F3A0280
	v_accvgpr_write_b32 a166, 0                                // 0000000059F8: D3D940A6 18000080
	v_mov_b32_e32 v158, 0                                      // 000000005A00: 7F3C0280
	v_accvgpr_write_b32 a167, 0                                // 000000005A04: D3D940A7 18000080
	v_mov_b32_e32 v159, 0                                      // 000000005A0C: 7F3E0280
	v_accvgpr_write_b32 a168, 0                                // 000000005A10: D3D940A8 18000080
	v_mov_b32_e32 v160, 0                                      // 000000005A18: 7F400280
	v_accvgpr_write_b32 a169, 0                                // 000000005A1C: D3D940A9 18000080
	v_mov_b32_e32 v161, 0                                      // 000000005A24: 7F420280
	v_accvgpr_write_b32 a170, 0                                // 000000005A28: D3D940AA 18000080
	v_mov_b32_e32 v162, 0                                      // 000000005A30: 7F440280
	v_accvgpr_write_b32 a171, 0                                // 000000005A34: D3D940AB 18000080
	v_mov_b32_e32 v163, 0                                      // 000000005A3C: 7F460280
	v_accvgpr_write_b32 a172, 0                                // 000000005A40: D3D940AC 18000080
	v_mov_b32_e32 v164, 0                                      // 000000005A48: 7F480280
	v_accvgpr_write_b32 a173, 0                                // 000000005A4C: D3D940AD 18000080
	v_mov_b32_e32 v165, 0                                      // 000000005A54: 7F4A0280
	v_accvgpr_write_b32 a174, 0                                // 000000005A58: D3D940AE 18000080
	v_mov_b32_e32 v166, 0                                      // 000000005A60: 7F4C0280
	v_accvgpr_write_b32 a175, 0                                // 000000005A64: D3D940AF 18000080
	v_mov_b32_e32 v167, 0                                      // 000000005A6C: 7F4E0280
	v_accvgpr_write_b32 a176, 0                                // 000000005A70: D3D940B0 18000080
	v_mov_b32_e32 v168, 0                                      // 000000005A78: 7F500280
	v_accvgpr_write_b32 a177, 0                                // 000000005A7C: D3D940B1 18000080
	v_mov_b32_e32 v169, 0                                      // 000000005A84: 7F520280
	v_accvgpr_write_b32 a178, 0                                // 000000005A88: D3D940B2 18000080
	v_mov_b32_e32 v170, 0                                      // 000000005A90: 7F540280
	v_accvgpr_write_b32 a179, 0                                // 000000005A94: D3D940B3 18000080
	v_mov_b32_e32 v171, 0                                      // 000000005A9C: 7F560280
	v_accvgpr_write_b32 a180, 0                                // 000000005AA0: D3D940B4 18000080
	v_mov_b32_e32 v172, 0                                      // 000000005AA8: 7F580280
	v_accvgpr_write_b32 a181, 0                                // 000000005AAC: D3D940B5 18000080
	v_mov_b32_e32 v173, 0                                      // 000000005AB4: 7F5A0280
	v_accvgpr_write_b32 a182, 0                                // 000000005AB8: D3D940B6 18000080
	v_mov_b32_e32 v174, 0                                      // 000000005AC0: 7F5C0280
	v_accvgpr_write_b32 a183, 0                                // 000000005AC4: D3D940B7 18000080
	v_mov_b32_e32 v175, 0                                      // 000000005ACC: 7F5E0280
	v_accvgpr_write_b32 a184, 0                                // 000000005AD0: D3D940B8 18000080
	v_mov_b32_e32 v176, 0                                      // 000000005AD8: 7F600280
	v_accvgpr_write_b32 a185, 0                                // 000000005ADC: D3D940B9 18000080
	v_mov_b32_e32 v177, 0                                      // 000000005AE4: 7F620280
	v_accvgpr_write_b32 a186, 0                                // 000000005AE8: D3D940BA 18000080
	v_mov_b32_e32 v178, 0                                      // 000000005AF0: 7F640280
	v_accvgpr_write_b32 a187, 0                                // 000000005AF4: D3D940BB 18000080
	v_mov_b32_e32 v179, 0                                      // 000000005AFC: 7F660280
	v_accvgpr_write_b32 a188, 0                                // 000000005B00: D3D940BC 18000080
	v_mov_b32_e32 v180, 0                                      // 000000005B08: 7F680280
	v_accvgpr_write_b32 a189, 0                                // 000000005B0C: D3D940BD 18000080
	v_mov_b32_e32 v181, 0                                      // 000000005B14: 7F6A0280
	v_accvgpr_write_b32 a190, 0                                // 000000005B18: D3D940BE 18000080
	v_mov_b32_e32 v182, 0                                      // 000000005B20: 7F6C0280
	v_accvgpr_write_b32 a191, 0                                // 000000005B24: D3D940BF 18000080
	v_mov_b32_e32 v183, 0                                      // 000000005B2C: 7F6E0280
	v_accvgpr_write_b32 a192, 0                                // 000000005B30: D3D940C0 18000080
	v_mov_b32_e32 v184, 0                                      // 000000005B38: 7F700280
	v_accvgpr_write_b32 a193, 0                                // 000000005B3C: D3D940C1 18000080
	v_mov_b32_e32 v185, 0                                      // 000000005B44: 7F720280
	v_accvgpr_write_b32 a194, 0                                // 000000005B48: D3D940C2 18000080
	v_mov_b32_e32 v186, 0                                      // 000000005B50: 7F740280
	v_accvgpr_write_b32 a195, 0                                // 000000005B54: D3D940C3 18000080
	v_mov_b32_e32 v187, 0                                      // 000000005B5C: 7F760280
	v_accvgpr_write_b32 a196, 0                                // 000000005B60: D3D940C4 18000080
	v_mov_b32_e32 v188, 0                                      // 000000005B68: 7F780280
	v_accvgpr_write_b32 a197, 0                                // 000000005B6C: D3D940C5 18000080
	v_mov_b32_e32 v189, 0                                      // 000000005B74: 7F7A0280
	v_accvgpr_write_b32 a198, 0                                // 000000005B78: D3D940C6 18000080
	v_mov_b32_e32 v190, 0                                      // 000000005B80: 7F7C0280
	v_accvgpr_write_b32 a199, 0                                // 000000005B84: D3D940C7 18000080
	v_mov_b32_e32 v191, 0                                      // 000000005B8C: 7F7E0280
	v_accvgpr_write_b32 a200, 0                                // 000000005B90: D3D940C8 18000080
	v_mov_b32_e32 v192, 0                                      // 000000005B98: 7F800280
	v_accvgpr_write_b32 a201, 0                                // 000000005B9C: D3D940C9 18000080
	v_mov_b32_e32 v193, 0                                      // 000000005BA4: 7F820280
	v_accvgpr_write_b32 a202, 0                                // 000000005BA8: D3D940CA 18000080
	v_mov_b32_e32 v194, 0                                      // 000000005BB0: 7F840280
	v_accvgpr_write_b32 a203, 0                                // 000000005BB4: D3D940CB 18000080
	v_mov_b32_e32 v195, 0                                      // 000000005BBC: 7F860280
	v_accvgpr_write_b32 a204, 0                                // 000000005BC0: D3D940CC 18000080
	v_mov_b32_e32 v196, 0                                      // 000000005BC8: 7F880280
	v_accvgpr_write_b32 a205, 0                                // 000000005BCC: D3D940CD 18000080
	v_mov_b32_e32 v197, 0                                      // 000000005BD4: 7F8A0280
	v_accvgpr_write_b32 a206, 0                                // 000000005BD8: D3D940CE 18000080
	v_mov_b32_e32 v198, 0                                      // 000000005BE0: 7F8C0280
	v_accvgpr_write_b32 a207, 0                                // 000000005BE4: D3D940CF 18000080
	v_mov_b32_e32 v199, 0                                      // 000000005BEC: 7F8E0280
	v_accvgpr_write_b32 a208, 0                                // 000000005BF0: D3D940D0 18000080
	v_mov_b32_e32 v200, 0                                      // 000000005BF8: 7F900280
	v_accvgpr_write_b32 a209, 0                                // 000000005BFC: D3D940D1 18000080
	v_mov_b32_e32 v201, 0                                      // 000000005C04: 7F920280
	v_accvgpr_write_b32 a210, 0                                // 000000005C08: D3D940D2 18000080
	v_mov_b32_e32 v202, 0                                      // 000000005C10: 7F940280
	v_accvgpr_write_b32 a211, 0                                // 000000005C14: D3D940D3 18000080
	v_mov_b32_e32 v203, 0                                      // 000000005C1C: 7F960280
	v_accvgpr_write_b32 a212, 0                                // 000000005C20: D3D940D4 18000080
	v_mov_b32_e32 v204, 0                                      // 000000005C28: 7F980280
	v_accvgpr_write_b32 a213, 0                                // 000000005C2C: D3D940D5 18000080
	v_mov_b32_e32 v205, 0                                      // 000000005C34: 7F9A0280
	v_accvgpr_write_b32 a214, 0                                // 000000005C38: D3D940D6 18000080
	v_mov_b32_e32 v206, 0                                      // 000000005C40: 7F9C0280
	v_accvgpr_write_b32 a215, 0                                // 000000005C44: D3D940D7 18000080
	v_mov_b32_e32 v207, 0                                      // 000000005C4C: 7F9E0280
	v_accvgpr_write_b32 a216, 0                                // 000000005C50: D3D940D8 18000080
	v_mov_b32_e32 v208, 0                                      // 000000005C58: 7FA00280
	v_accvgpr_write_b32 a217, 0                                // 000000005C5C: D3D940D9 18000080
	v_mov_b32_e32 v209, 0                                      // 000000005C64: 7FA20280
	v_accvgpr_write_b32 a218, 0                                // 000000005C68: D3D940DA 18000080
	v_mov_b32_e32 v210, 0                                      // 000000005C70: 7FA40280
	v_accvgpr_write_b32 a219, 0                                // 000000005C74: D3D940DB 18000080
	v_mov_b32_e32 v211, 0                                      // 000000005C7C: 7FA60280
	v_accvgpr_write_b32 a220, 0                                // 000000005C80: D3D940DC 18000080
	v_mov_b32_e32 v212, 0                                      // 000000005C88: 7FA80280
	v_accvgpr_write_b32 a221, 0                                // 000000005C8C: D3D940DD 18000080
	v_mov_b32_e32 v213, 0                                      // 000000005C94: 7FAA0280
	v_accvgpr_write_b32 a222, 0                                // 000000005C98: D3D940DE 18000080
	v_mov_b32_e32 v214, 0                                      // 000000005CA0: 7FAC0280
	v_accvgpr_write_b32 a223, 0                                // 000000005CA4: D3D940DF 18000080
	v_mov_b32_e32 v215, 0                                      // 000000005CAC: 7FAE0280
	v_accvgpr_write_b32 a224, 0                                // 000000005CB0: D3D940E0 18000080
	v_mov_b32_e32 v216, 0                                      // 000000005CB8: 7FB00280
	v_accvgpr_write_b32 a225, 0                                // 000000005CBC: D3D940E1 18000080
	v_mov_b32_e32 v217, 0                                      // 000000005CC4: 7FB20280
	v_accvgpr_write_b32 a226, 0                                // 000000005CC8: D3D940E2 18000080
	v_mov_b32_e32 v218, 0                                      // 000000005CD0: 7FB40280
	v_accvgpr_write_b32 a227, 0                                // 000000005CD4: D3D940E3 18000080
	v_mov_b32_e32 v219, 0                                      // 000000005CDC: 7FB60280
	v_accvgpr_write_b32 a228, 0                                // 000000005CE0: D3D940E4 18000080
	v_mov_b32_e32 v220, 0                                      // 000000005CE8: 7FB80280
	v_accvgpr_write_b32 a229, 0                                // 000000005CEC: D3D940E5 18000080
	v_mov_b32_e32 v221, 0                                      // 000000005CF4: 7FBA0280
	v_accvgpr_write_b32 a230, 0                                // 000000005CF8: D3D940E6 18000080
	v_mov_b32_e32 v222, 0                                      // 000000005D00: 7FBC0280
	v_accvgpr_write_b32 a231, 0                                // 000000005D04: D3D940E7 18000080
	v_mov_b32_e32 v223, 0                                      // 000000005D0C: 7FBE0280
	v_accvgpr_write_b32 a232, 0                                // 000000005D10: D3D940E8 18000080
	v_mov_b32_e32 v224, 0                                      // 000000005D18: 7FC00280
	v_accvgpr_write_b32 a233, 0                                // 000000005D1C: D3D940E9 18000080
	v_mov_b32_e32 v225, 0                                      // 000000005D24: 7FC20280
	v_accvgpr_write_b32 a234, 0                                // 000000005D28: D3D940EA 18000080
	v_mov_b32_e32 v226, 0                                      // 000000005D30: 7FC40280
	v_accvgpr_write_b32 a235, 0                                // 000000005D34: D3D940EB 18000080
	v_mov_b32_e32 v227, 0                                      // 000000005D3C: 7FC60280
	v_accvgpr_write_b32 a236, 0                                // 000000005D40: D3D940EC 18000080
	v_mov_b32_e32 v228, 0                                      // 000000005D48: 7FC80280
	v_accvgpr_write_b32 a237, 0                                // 000000005D4C: D3D940ED 18000080
	v_mov_b32_e32 v229, 0                                      // 000000005D54: 7FCA0280
	v_accvgpr_write_b32 a238, 0                                // 000000005D58: D3D940EE 18000080
	v_mov_b32_e32 v230, 0                                      // 000000005D60: 7FCC0280
	v_accvgpr_write_b32 a239, 0                                // 000000005D64: D3D940EF 18000080
	v_mov_b32_e32 v231, 0                                      // 000000005D6C: 7FCE0280
	v_accvgpr_write_b32 a240, 0                                // 000000005D70: D3D940F0 18000080
	v_mov_b32_e32 v232, 0                                      // 000000005D78: 7FD00280
	v_accvgpr_write_b32 a241, 0                                // 000000005D7C: D3D940F1 18000080
	v_mov_b32_e32 v233, 0                                      // 000000005D84: 7FD20280
	v_accvgpr_write_b32 a242, 0                                // 000000005D88: D3D940F2 18000080
	v_mov_b32_e32 v234, 0                                      // 000000005D90: 7FD40280
	v_accvgpr_write_b32 a243, 0                                // 000000005D94: D3D940F3 18000080
	v_mov_b32_e32 v235, 0                                      // 000000005D9C: 7FD60280
	v_accvgpr_write_b32 a244, 0                                // 000000005DA0: D3D940F4 18000080
	v_mov_b32_e32 v236, 0                                      // 000000005DA8: 7FD80280
	v_accvgpr_write_b32 a245, 0                                // 000000005DAC: D3D940F5 18000080
	v_mov_b32_e32 v237, 0                                      // 000000005DB4: 7FDA0280
	v_accvgpr_write_b32 a246, 0                                // 000000005DB8: D3D940F6 18000080
	v_mov_b32_e32 v238, 0                                      // 000000005DC0: 7FDC0280
	v_accvgpr_write_b32 a247, 0                                // 000000005DC4: D3D940F7 18000080
	v_mov_b32_e32 v239, 0                                      // 000000005DCC: 7FDE0280
	v_accvgpr_write_b32 a248, 0                                // 000000005DD0: D3D940F8 18000080
	v_mov_b32_e32 v240, 0                                      // 000000005DD8: 7FE00280
	v_accvgpr_write_b32 a249, 0                                // 000000005DDC: D3D940F9 18000080
	v_mov_b32_e32 v241, 0                                      // 000000005DE4: 7FE20280
	v_accvgpr_write_b32 a250, 0                                // 000000005DE8: D3D940FA 18000080
	v_mov_b32_e32 v242, 0                                      // 000000005DF0: 7FE40280
	v_accvgpr_write_b32 a251, 0                                // 000000005DF4: D3D940FB 18000080
	v_mov_b32_e32 v243, 0                                      // 000000005DFC: 7FE60280
	v_accvgpr_write_b32 a252, 0                                // 000000005E00: D3D940FC 18000080
	v_mov_b32_e32 v244, 0                                      // 000000005E08: 7FE80280
	v_accvgpr_write_b32 a253, 0                                // 000000005E0C: D3D940FD 18000080
	v_mov_b32_e32 v245, 0                                      // 000000005E14: 7FEA0280
	v_accvgpr_write_b32 a254, 0                                // 000000005E18: D3D940FE 18000080
	v_mov_b32_e32 v246, 0                                      // 000000005E20: 7FEC0280
	v_accvgpr_write_b32 a255, 0                                // 000000005E24: D3D940FF 18000080
	v_mov_b32_e32 v247, 0                                      // 000000005E2C: 7FEE0280
	v_mov_b32_e32 v136, 0                                      // 000000005E30: 7F100280
	v_mov_b32_e32 v137, 0                                      // 000000005E34: 7F120280
	v_mov_b32_e32 v138, 0                                      // 000000005E38: 7F140280
	v_mov_b32_e32 v139, 0                                      // 000000005E3C: 7F160280
	v_mov_b32_e32 v140, 0                                      // 000000005E40: 7F180280
	v_mov_b32_e32 v141, 0                                      // 000000005E44: 7F1A0280
	v_mov_b32_e32 v142, 0                                      // 000000005E48: 7F1C0280
	v_mov_b32_e32 v143, 0                                      // 000000005E4C: 7F1E0280
	v_mov_b32_e32 v128, 0                                      // 000000005E50: 7F000280
	v_mov_b32_e32 v129, 0                                      // 000000005E54: 7F020280
	v_mov_b32_e32 v130, 0                                      // 000000005E58: 7F040280
	v_mov_b32_e32 v131, 0                                      // 000000005E5C: 7F060280
	v_mov_b32_e32 v132, 0                                      // 000000005E60: 7F080280
	v_mov_b32_e32 v133, 0                                      // 000000005E64: 7F0A0280
	v_mov_b32_e32 v134, 0                                      // 000000005E68: 7F0C0280
	v_mov_b32_e32 v135, 0                                      // 000000005E6C: 7F0E0280
	s_waitcnt lgkmcnt(0)                                       // 000000005E70: BF8CC07F
	s_barrier                                                  // 000000005E74: BF8A0000
	buffer_load_dword v32, v1, s[8:11], 0 idxen                // 000000005E78: E0502000 80022001
	buffer_load_dword v33, v2, s[8:11], 0 idxen                // 000000005E80: E0502000 80022102
	buffer_load_dword v34, v3, s[8:11], 0 idxen                // 000000005E88: E0502000 80022203
	buffer_load_dword v35, v4, s[8:11], 0 idxen                // 000000005E90: E0502000 80022304
	buffer_load_dword v40, v252, s[20:23], 0 idxen             // 000000005E98: E0502000 800528FC
	buffer_load_dword v41, v253, s[20:23], 0 idxen             // 000000005EA0: E0502000 800529FD
	buffer_load_dword v42, v254, s[20:23], 0 idxen             // 000000005EA8: E0502000 80052AFE
	buffer_load_dword v43, v255, s[20:23], 0 idxen             // 000000005EB0: E0502000 80052BFF
	buffer_load_dword v9, s[24:27], 0 idxen lds                // 000000005EB8: E0512000 80060009
	s_mov_b32 m0, s77                                          // 000000005EC0: BEFC004D
	v_add_u32_e32 v9, s69, v9                                  // 000000005EC4: 68121245
	v_add_u32_e32 v1, s68, v1                                  // 000000005EC8: 68020244
	v_add_u32_e32 v2, s68, v2                                  // 000000005ECC: 68040444
	v_add_u32_e32 v3, s68, v3                                  // 000000005ED0: 68060644
	v_add_u32_e32 v4, s68, v4                                  // 000000005ED4: 68080844
	v_add_u32_e32 v252, s101, v252                             // 000000005ED8: 69F9F865
	v_add_u32_e32 v253, s101, v253                             // 000000005EDC: 69FBFA65
	v_add_u32_e32 v254, s101, v254                             // 000000005EE0: 69FDFC65
	v_add_u32_e32 v255, s101, v255                             // 000000005EE4: 69FFFE65
	v_mul_f32_e32 v124, s48, v124                              // 000000005EE8: 0AF8F830
	v_perm_b32 v84, v37, v36, s63                              // 000000005EEC: D1ED0054 00FE4925
	v_perm_b32 v85, v37, v36, s64                              // 000000005EF4: D1ED0055 01024925
	v_perm_b32 v86, v39, v38, s63                              // 000000005EFC: D1ED0056 00FE4D27
	v_perm_b32 v87, v39, v38, s64                              // 000000005F04: D1ED0057 01024D27
	v_perm_b32 v88, v45, v44, s63                              // 000000005F0C: D1ED0058 00FE592D
	v_perm_b32 v89, v45, v44, s64                              // 000000005F14: D1ED0059 0102592D
	v_perm_b32 v90, v47, v46, s63                              // 000000005F1C: D1ED005A 00FE5D2F
	v_perm_b32 v91, v47, v46, s64                              // 000000005F24: D1ED005B 01025D2F
	v_mov_b32_dpp v127, v124 quad_perm:[3,3,3,3] row_mask:0xf bank_mask:0xf// 000000005F2C: 7EFE02FA FF00FF7C
	v_mov_b32_dpp v126, v124 quad_perm:[2,2,2,2] row_mask:0xf bank_mask:0xf// 000000005F34: 7EFC02FA FF00AA7C
	v_mov_b32_dpp v125, v124 quad_perm:[1,1,1,1] row_mask:0xf bank_mask:0xf// 000000005F3C: 7EFA02FA FF00557C
	v_mov_b32_dpp v124, v124 quad_perm:[0,0,0,0] row_mask:0xf bank_mask:0xf// 000000005F44: 7EF802FA FF00007C
	s_waitcnt vmcnt(9)                                         // 000000005F4C: BF8C0F79
	s_barrier                                                  // 000000005F50: BF8A0000
	s_cmp_lt_i32 s46, 2                                        // 000000005F54: BF04822E
	s_cbranch_scc0 label_0D81                                  // 000000005F58: BF840520
	s_nop 0                                                    // 000000005F5C: BF800000
	s_nop 0                                                    // 000000005F60: BF800000

0000000000005f64 <label_0859>:
	s_waitcnt lgkmcnt(0)                                       // 000000005F64: BF8CC07F
	s_barrier                                                  // 000000005F68: BF8A0000
	v_mfma_f32_16x16x16_bf16 v[48:51], a[144:145], a[0:1], 0   // 000000005F6C: D3E10030 1A020190
	ds_write_b32 v11, v44 offset:8704                          // 000000005F74: D81A2200 00002C0B
	ds_write_b32 v11, v45 offset:9760                          // 000000005F7C: D81A2620 00002D0B
	v_mfma_f32_16x16x16_bf16 v[48:51], a[146:147], a[2:3], v[48:51]// 000000005F84: D3E10030 1CC20592
	v_mul_f32_e32 v128, s47, v128                              // 000000005F8C: 0B01002F
	v_mul_f32_e32 v129, s47, v129                              // 000000005F90: 0B03022F
	v_mfma_f32_16x16x16_bf16 v[48:51], a[148:149], a[4:5], v[48:51]// 000000005F94: D3E10030 1CC20994
	ds_write_b32 v11, v46 offset:8832                          // 000000005F9C: D81A2280 00002E0B
	ds_write_b32 v11, v47 offset:9888                          // 000000005FA4: D81A26A0 00002F0B
	v_mfma_f32_16x16x16_bf16 v[48:51], a[150:151], a[6:7], v[48:51]// 000000005FAC: D3E10030 1CC20D96
	v_mul_f32_e32 v130, s47, v130                              // 000000005FB4: 0B05042F
	v_mul_f32_e32 v131, s47, v131                              // 000000005FB8: 0B07062F
	v_mfma_f32_16x16x16_bf16 v[48:51], a[152:153], a[8:9], v[48:51]// 000000005FBC: D3E10030 1CC21198
	ds_write_b64 v20, v[128:129] offset:24320                  // 000000005FC4: D89A5F00 00008014
	v_mfma_f32_16x16x16_bf16 v[48:51], a[154:155], a[10:11], v[48:51]// 000000005FCC: D3E10030 1CC2159A
	v_mul_f32_e32 v132, s47, v132                              // 000000005FD4: 0B09082F
	v_mul_f32_e32 v133, s47, v133                              // 000000005FD8: 0B0B0A2F
	v_mfma_f32_16x16x16_bf16 v[48:51], a[156:157], a[12:13], v[48:51]// 000000005FDC: D3E10030 1CC2199C
	ds_write_b64 v20, v[130:131] offset:24832                  // 000000005FE4: D89A6100 00008214
	v_mfma_f32_16x16x16_bf16 v[48:51], a[158:159], a[14:15], v[48:51]// 000000005FEC: D3E10030 1CC21D9E
	v_mul_f32_e32 v134, s47, v134                              // 000000005FF4: 0B0D0C2F
	v_mul_f32_e32 v135, s47, v135                              // 000000005FF8: 0B0F0E2F
	v_mfma_f32_16x16x16_bf16 v[52:55], a[144:145], a[16:17], 0 // 000000005FFC: D3E10034 1A022190
	ds_write_b64 v20, v[132:133] offset:25344                  // 000000006004: D89A6300 00008414
	v_mfma_f32_16x16x16_bf16 v[52:55], a[146:147], a[18:19], v[52:55]// 00000000600C: D3E10034 1CD22592
	buffer_atomic_add_f32 v140, v7, s[32:35], 0 offen offset:256// 000000006014: E1341100 80088C07
	v_mfma_f32_16x16x16_bf16 v[52:55], a[148:149], a[20:21], v[52:55]// 00000000601C: D3E10034 1CD22994
	ds_write_b64 v20, v[134:135] offset:25856                  // 000000006024: D89A6500 00008614
	v_mfma_f32_16x16x16_bf16 v[52:55], a[150:151], a[22:23], v[52:55]// 00000000602C: D3E10034 1CD22D96
	v_mfma_f32_16x16x16_bf16 v[52:55], a[152:153], a[24:25], v[52:55]// 000000006034: D3E10034 1CD23198
	ds_read_b128 v[108:111], v12 offset:13056                  // 00000000603C: D9FE3300 6C00000C
	ds_write_b32 v11, v36                                      // 000000006044: D81A0000 0000240B
	v_mfma_f32_16x16x16_bf16 v[52:55], a[154:155], a[26:27], v[52:55]// 00000000604C: D3E10034 1CD2359A
	buffer_atomic_add_f32 v141, v8, s[32:35], 0 offen offset:256// 000000006054: E1341100 80088D08
	v_mfma_f32_16x16x16_bf16 v[52:55], a[156:157], a[28:29], v[52:55]// 00000000605C: D3E10034 1CD2399C
	v_mfma_f32_16x16x16_bf16 v[52:55], a[158:159], a[30:31], v[52:55]// 000000006064: D3E10034 1CD23D9E
	ds_read_b128 v[112:115], v12 offset:13568                  // 00000000606C: D9FE3500 7000000C
	ds_write_b32 v11, v37 offset:1056                          // 000000006074: D81A0420 0000250B
	v_mfma_f32_16x16x16_bf16 v[56:59], a[144:145], a[32:33], 0 // 00000000607C: D3E10038 1A024190
	buffer_atomic_add_f32 v142, v7, s[32:35], 0 offen offset:384// 000000006084: E1341180 80088E07
	v_mfma_f32_16x16x16_bf16 v[56:59], a[146:147], a[34:35], v[56:59]// 00000000608C: D3E10038 1CE24592
	v_mfma_f32_16x16x16_bf16 v[56:59], a[148:149], a[36:37], v[56:59]// 000000006094: D3E10038 1CE24994
	ds_read_b128 v[116:119], v12 offset:15232                  // 00000000609C: D9FE3B80 7400000C
	ds_write_b32 v11, v38 offset:128                           // 0000000060A4: D81A0080 0000260B
	v_mfma_f32_16x16x16_bf16 v[56:59], a[150:151], a[38:39], v[56:59]// 0000000060AC: D3E10038 1CE24D96
	v_mfma_f32_16x16x16_bf16 v[56:59], a[152:153], a[40:41], v[56:59]// 0000000060B4: D3E10038 1CE25198
	buffer_atomic_add_f32 v143, v8, s[32:35], 0 offen offset:384// 0000000060BC: E1341180 80088F08
	v_mfma_f32_16x16x16_bf16 v[56:59], a[154:155], a[42:43], v[56:59]// 0000000060C4: D3E10038 1CE2559A
	ds_read_b128 v[120:123], v12 offset:15744                  // 0000000060CC: D9FE3D80 7800000C
	ds_write_b32 v11, v39 offset:1184                          // 0000000060D4: D81A04A0 0000270B
	v_mfma_f32_16x16x16_bf16 v[56:59], a[156:157], a[44:45], v[56:59]// 0000000060DC: D3E10038 1CE2599C
	v_mfma_f32_16x16x16_bf16 v[56:59], a[158:159], a[46:47], v[56:59]// 0000000060E4: D3E10038 1CE25D9E
	s_cmp_lt_i32 s81, 0xc0                                     // 0000000060EC: BF04FF51 000000C0
	s_cbranch_scc0 label_0910                                  // 0000000060F4: BF84004D
	s_cmp_le_i32 s81, 64                                       // 0000000060F8: BF05C051
	s_cbranch_scc1 label_08C7                                  // 0000000060FC: BF850007
	s_cmp_le_i32 s81, 0x80                                     // 000000006100: BF05FF51 00000080
	s_cbranch_scc1 label_08DF                                  // 000000006108: BF850017
	s_cmp_lt_i32 s81, 0xc0                                     // 00000000610C: BF04FF51 000000C0
	s_cbranch_scc1 label_08F7                                  // 000000006114: BF85002C
	s_branch label_0910                                        // 000000006118: BF820044

000000000000611c <label_08C7>:
	s_mov_b32 s60, 0                                           // 00000000611C: BEBC0080
	v_and_b32_e32 v28, 15, v0                                  // 000000006120: 2638008F
	v_add_u32_e64 v28, v28, s60                                // 000000006124: D134001C 0000791C
	v_mul_i32_i24_e64 v29, s46, 16                             // 00000000612C: D106001D 0001202E
	v_add_u32_e32 v28, v28, v29                                // 000000006134: 68383B1C
	v_cmp_lt_u32_e64 s[60:61], v28, s81                        // 000000006138: D0C9003C 0000A31C
	s_nop 1                                                    // 000000006140: BF800001
	v_cndmask_b32_e64 v48, v151, v48, s[60:61]                 // 000000006144: D1000030 00F26197
	v_cndmask_b32_e64 v49, v151, v49, s[60:61]                 // 00000000614C: D1000031 00F26397
	v_cndmask_b32_e64 v50, v151, v50, s[60:61]                 // 000000006154: D1000032 00F26597
	v_cndmask_b32_e64 v51, v151, v51, s[60:61]                 // 00000000615C: D1000033 00F26797
	s_branch label_08F2                                        // 000000006164: BF820013

0000000000006168 <label_08DF>:
	s_mov_b32 s60, 64                                          // 000000006168: BEBC00C0
	v_and_b32_e32 v28, 15, v0                                  // 00000000616C: 2638008F
	v_add_u32_e64 v28, v28, s60                                // 000000006170: D134001C 0000791C
	v_mul_i32_i24_e64 v29, s46, 16                             // 000000006178: D106001D 0001202E
	v_add_u32_e32 v28, v28, v29                                // 000000006180: 68383B1C
	v_cmp_lt_u32_e64 s[60:61], v28, s81                        // 000000006184: D0C9003C 0000A31C
	s_nop 1                                                    // 00000000618C: BF800001
	v_cndmask_b32_e64 v52, v151, v52, s[60:61]                 // 000000006190: D1000034 00F26997
	v_cndmask_b32_e64 v53, v151, v53, s[60:61]                 // 000000006198: D1000035 00F26B97
	v_cndmask_b32_e64 v54, v151, v54, s[60:61]                 // 0000000061A0: D1000036 00F26D97
	v_cndmask_b32_e64 v55, v151, v55, s[60:61]                 // 0000000061A8: D1000037 00F26F97
	s_branch label_090B                                        // 0000000061B0: BF820019

00000000000061b4 <label_08F2>:
	v_mov_b32_e32 v52, v151                                    // 0000000061B4: 7E680397
	v_mov_b32_e32 v53, v151                                    // 0000000061B8: 7E6A0397
	v_mov_b32_e32 v54, v151                                    // 0000000061BC: 7E6C0397
	v_mov_b32_e32 v55, v151                                    // 0000000061C0: 7E6E0397
	s_branch label_090B                                        // 0000000061C4: BF820014

00000000000061c8 <label_08F7>:
	s_mov_b32 s60, 0x80                                        // 0000000061C8: BEBC00FF 00000080
	v_and_b32_e32 v28, 15, v0                                  // 0000000061D0: 2638008F
	v_add_u32_e64 v28, v28, s60                                // 0000000061D4: D134001C 0000791C
	v_mul_i32_i24_e64 v29, s46, 16                             // 0000000061DC: D106001D 0001202E
	v_add_u32_e32 v28, v28, v29                                // 0000000061E4: 68383B1C
	v_cmp_lt_u32_e64 s[60:61], v28, s81                        // 0000000061E8: D0C9003C 0000A31C
	s_nop 1                                                    // 0000000061F0: BF800001
	v_cndmask_b32_e64 v56, v151, v56, s[60:61]                 // 0000000061F4: D1000038 00F27197
	v_cndmask_b32_e64 v57, v151, v57, s[60:61]                 // 0000000061FC: D1000039 00F27397
	v_cndmask_b32_e64 v58, v151, v58, s[60:61]                 // 000000006204: D100003A 00F27597
	v_cndmask_b32_e64 v59, v151, v59, s[60:61]                 // 00000000620C: D100003B 00F27797
	s_branch label_0910                                        // 000000006214: BF820005

0000000000006218 <label_090B>:
	v_mov_b32_e32 v56, v151                                    // 000000006218: 7E700397
	v_mov_b32_e32 v57, v151                                    // 00000000621C: 7E720397
	v_mov_b32_e32 v58, v151                                    // 000000006220: 7E740397
	v_mov_b32_e32 v59, v151                                    // 000000006224: 7E760397
	s_branch label_0910                                        // 000000006228: BF820000

000000000000622c <label_0910>:
	s_waitcnt lgkmcnt(8)                                       // 00000000622C: BF8CC87F
	s_barrier                                                  // 000000006230: BF8A0000
	v_mfma_f32_16x16x16_bf16 v[72:75], v[92:93], a[96:97], 0   // 000000006234: D3E10048 1202C15C
	ds_read_b128 a[144:147], v12 offset:4352                   // 00000000623C: DBFE1100 9000000C
	ds_read_b128 a[148:151], v12 offset:4864                   // 000000006244: DBFE1300 9400000C
	v_mfma_f32_16x16x16_bf16 v[72:75], v[94:95], a[98:99], v[72:75]// 00000000624C: D3E10048 1522C55E
	v_fma_f32 v48, v48, s57, -v124                             // 000000006254: D1CB0030 85F07330
	v_fma_f32 v49, v49, s57, -v125                             // 00000000625C: D1CB0031 85F47331
	v_fma_f32 v50, v50, s57, -v126                             // 000000006264: D1CB0032 85F87332
	v_mfma_f32_16x16x16_bf16 v[72:75], v[96:97], a[100:101], v[72:75]// 00000000626C: D3E10048 1522C960
	v_fma_f32 v51, v51, s57, -v127                             // 000000006274: D1CB0033 85FC7333
	v_fma_f32 v52, v52, s57, -v124                             // 00000000627C: D1CB0034 85F07334
	v_fma_f32 v53, v53, s57, -v125                             // 000000006284: D1CB0035 85F47335
	v_mfma_f32_16x16x16_bf16 v[72:75], v[98:99], a[102:103], v[72:75]// 00000000628C: D3E10048 1522CD62
	v_fma_f32 v54, v54, s57, -v126                             // 000000006294: D1CB0036 85F87336
	v_fma_f32 v55, v55, s57, -v127                             // 00000000629C: D1CB0037 85FC7337
	v_fma_f32 v56, v56, s57, -v124                             // 0000000062A4: D1CB0038 85F07338
	v_mfma_f32_16x16x16_bf16 v[72:75], v[100:101], a[104:105], v[72:75]// 0000000062AC: D3E10048 1522D164
	ds_read_b128 a[152:155], v12 offset:6528                   // 0000000062B4: DBFE1980 9800000C
	ds_read_b128 a[156:159], v12 offset:7040                   // 0000000062BC: DBFE1B80 9C00000C
	v_mfma_f32_16x16x16_bf16 v[72:75], v[102:103], a[106:107], v[72:75]// 0000000062C4: D3E10048 1522D566
	v_fma_f32 v57, v57, s57, -v125                             // 0000000062CC: D1CB0039 85F47339
	v_fma_f32 v58, v58, s57, -v126                             // 0000000062D4: D1CB003A 85F8733A
	v_fma_f32 v59, v59, s57, -v127                             // 0000000062DC: D1CB003B 85FC733B
	v_mfma_f32_16x16x16_bf16 v[72:75], v[104:105], a[108:109], v[72:75]// 0000000062E4: D3E10048 1522D968
	v_exp_f32_e32 v48, v48                                     // 0000000062EC: 7E604130
	v_mfma_f32_16x16x16_bf16 v[72:75], v[106:107], a[110:111], v[72:75]// 0000000062F0: D3E10048 1522DD6A
	v_exp_f32_e32 v49, v49                                     // 0000000062F8: 7E624131
	v_mfma_f32_16x16x16_bf16 v[76:79], v[92:93], a[112:113], 0 // 0000000062FC: D3E1004C 1202E15C
	ds_read_b64 v[136:137], v19 offset:24320                   // 000000006304: D8EC5F00 88000013
	ds_read_b64 v[138:139], v19 offset:26368                   // 00000000630C: D8EC6700 8A000013
	v_mfma_f32_16x16x16_bf16 v[76:79], v[94:95], a[114:115], v[76:79]// 000000006314: D3E1004C 1532E55E
	v_exp_f32_e32 v50, v50                                     // 00000000631C: 7E644132
	v_mfma_f32_16x16x16_bf16 v[76:79], v[96:97], a[116:117], v[76:79]// 000000006320: D3E1004C 1532E960
	ds_read_b64 v[140:141], v19 offset:28416                   // 000000006328: D8EC6F00 8C000013
	ds_read_b64 v[142:143], v19 offset:30464                   // 000000006330: D8EC7700 8E000013
	v_mfma_f32_16x16x16_bf16 v[76:79], v[98:99], a[118:119], v[76:79]// 000000006338: D3E1004C 1532ED62
	v_exp_f32_e32 v51, v51                                     // 000000006340: 7E664133
	v_mfma_f32_16x16x16_bf16 v[76:79], v[100:101], a[120:121], v[76:79]// 000000006344: D3E1004C 1532F164
	v_exp_f32_e32 v52, v52                                     // 00000000634C: 7E684134
	v_mfma_f32_16x16x16_bf16 v[76:79], v[102:103], a[122:123], v[76:79]// 000000006350: D3E1004C 1532F566
	v_exp_f32_e32 v53, v53                                     // 000000006358: 7E6A4135
	v_mfma_f32_16x16x16_bf16 v[76:79], v[104:105], a[124:125], v[76:79]// 00000000635C: D3E1004C 1532F968
	v_exp_f32_e32 v54, v54                                     // 000000006364: 7E6C4136
	v_mfma_f32_16x16x16_bf16 v[76:79], v[106:107], a[126:127], v[76:79]// 000000006368: D3E1004C 1532FD6A
	v_exp_f32_e32 v55, v55                                     // 000000006370: 7E6E4137
	v_mfma_f32_16x16x16_bf16 v[80:83], v[92:93], a[128:129], 0 // 000000006374: D3E10050 1203015C
	v_exp_f32_e32 v56, v56                                     // 00000000637C: 7E704138
	v_mfma_f32_16x16x16_bf16 v[80:83], v[94:95], a[130:131], v[80:83]// 000000006380: D3E10050 1543055E
	v_exp_f32_e32 v57, v57                                     // 000000006388: 7E724139
	v_mfma_f32_16x16x16_bf16 v[80:83], v[96:97], a[132:133], v[80:83]// 00000000638C: D3E10050 15430960
	v_exp_f32_e32 v58, v58                                     // 000000006394: 7E74413A
	v_mfma_f32_16x16x16_bf16 v[80:83], v[98:99], a[134:135], v[80:83]// 000000006398: D3E10050 15430D62
	v_exp_f32_e32 v59, v59                                     // 0000000063A0: 7E76413B
	v_mfma_f32_16x16x16_bf16 v[80:83], v[100:101], a[136:137], v[80:83]// 0000000063A4: D3E10050 15431164
	v_perm_b32 v144, v49, v48, s64                             // 0000000063AC: D1ED0090 01026131
	v_perm_b32 v145, v51, v50, s64                             // 0000000063B4: D1ED0091 01026533
	v_perm_b32 v146, v53, v52, s64                             // 0000000063BC: D1ED0092 01026935
	v_mfma_f32_16x16x16_bf16 v[80:83], v[102:103], a[138:139], v[80:83]// 0000000063C4: D3E10050 15431566
	v_perm_b32 v147, v55, v54, s64                             // 0000000063CC: D1ED0093 01026D37
	v_perm_b32 v148, v57, v56, s64                             // 0000000063D4: D1ED0094 01027139
	v_perm_b32 v149, v59, v58, s64                             // 0000000063DC: D1ED0095 0102753B
	v_mfma_f32_16x16x16_bf16 v[80:83], v[104:105], a[140:141], v[80:83]// 0000000063E4: D3E10050 15431968
	v_add_u32_e32 v7, s66, v7                                  // 0000000063EC: 680E0E42
	v_add_u32_e32 v8, s66, v8                                  // 0000000063F0: 68101042
	v_mfma_f32_16x16x16_bf16 v[80:83], v[106:107], a[142:143], v[80:83]// 0000000063F4: D3E10050 15431D6A
	s_waitcnt lgkmcnt(0)                                       // 0000000063FC: BF8CC07F
	s_barrier                                                  // 000000006400: BF8A0000
	v_mfma_f32_16x16x16_bf16 v[152:155], v[108:109], v[144:145], v[152:155]// 000000006404: D3E10098 0663216C
	v_subrev_f32_dpp v72, v150, v72 quad_perm:[0,0,0,0] row_mask:0xf bank_mask:0xf// 00000000640C: 069090FA FF000096
	v_subrev_f32_dpp v73, v150, v73 quad_perm:[1,1,1,1] row_mask:0xf bank_mask:0xf// 000000006414: 069292FA FF005596
	v_subrev_f32_dpp v74, v150, v74 quad_perm:[2,2,2,2] row_mask:0xf bank_mask:0xf// 00000000641C: 069494FA FF00AA96
	v_mfma_f32_16x16x16_bf16 v[156:159], v[110:111], v[144:145], v[156:159]// 000000006424: D3E1009C 0673216E
	v_subrev_f32_dpp v75, v150, v75 quad_perm:[3,3,3,3] row_mask:0xf bank_mask:0xf// 00000000642C: 069696FA FF00FF96
	v_subrev_f32_dpp v76, v150, v76 quad_perm:[0,0,0,0] row_mask:0xf bank_mask:0xf// 000000006434: 069898FA FF000096
	v_subrev_f32_dpp v77, v150, v77 quad_perm:[1,1,1,1] row_mask:0xf bank_mask:0xf// 00000000643C: 069A9AFA FF005596
	v_mfma_f32_16x16x16_bf16 v[160:163], v[112:113], v[144:145], v[160:163]// 000000006444: D3E100A0 06832170
	v_mul_f32_e32 v72, v48, v72                                // 00000000644C: 0A909130
	v_mul_f32_e32 v73, v49, v73                                // 000000006450: 0A929331
	v_mul_f32_e32 v74, v50, v74                                // 000000006454: 0A949532
	v_mfma_f32_16x16x16_bf16 v[164:167], v[114:115], v[144:145], v[164:167]// 000000006458: D3E100A4 06932172
	v_mul_f32_e32 v75, v51, v75                                // 000000006460: 0A969733
	v_mul_f32_e32 v76, v52, v76                                // 000000006464: 0A989934
	v_mul_f32_e32 v77, v53, v77                                // 000000006468: 0A9A9B35
	v_mfma_f32_16x16x16_bf16 v[168:171], v[116:117], v[144:145], v[168:171]// 00000000646C: D3E100A8 06A32174
	v_perm_b32 v72, v73, v72, s64                              // 000000006474: D1ED0048 01029149
	v_perm_b32 v73, v75, v74, s64                              // 00000000647C: D1ED0049 0102954B
	v_perm_b32 v74, v77, v76, s64                              // 000000006484: D1ED004A 0102994D
	v_mfma_f32_16x16x16_bf16 v[172:175], v[118:119], v[144:145], v[172:175]// 00000000648C: D3E100AC 06B32176
	v_mov_b32_dpp v16, v72 quad_perm:[1,0,3,2] row_mask:0xf bank_mask:0xf// 000000006494: 7E2002FA FF00B148
	v_perm_b32 v48, v16, v72, v15                              // 00000000649C: D1ED0030 043E9110
	v_mov_b32_dpp v16, v73 quad_perm:[1,0,3,2] row_mask:0xf bank_mask:0xf// 0000000064A4: 7E2002FA FF00B149
	v_mfma_f32_16x16x16_bf16 v[176:179], v[120:121], v[144:145], v[176:179]// 0000000064AC: D3E100B0 06C32178
	v_perm_b32 v49, v16, v73, v15                              // 0000000064B4: D1ED0031 043E9310
	v_mov_b32_dpp v16, v74 quad_perm:[1,0,3,2] row_mask:0xf bank_mask:0xf// 0000000064BC: 7E2002FA FF00B14A
	v_perm_b32 v50, v16, v74, v15                              // 0000000064C4: D1ED0032 043E9510
	v_mfma_f32_16x16x16_bf16 v[180:183], v[122:123], v[144:145], v[180:183]// 0000000064CC: D3E100B4 06D3217A
	ds_write_b32 v18, v48 offset:17408                         // 0000000064D4: D81A4400 00003012
	v_mfma_f32_16x16x16_bf16 v[184:187], v[108:109], v[146:147], v[184:187]// 0000000064DC: D3E100B8 06E3256C
	v_subrev_f32_dpp v78, v150, v78 quad_perm:[2,2,2,2] row_mask:0xf bank_mask:0xf// 0000000064E4: 069C9CFA FF00AA96
	v_subrev_f32_dpp v79, v150, v79 quad_perm:[3,3,3,3] row_mask:0xf bank_mask:0xf// 0000000064EC: 069E9EFA FF00FF96
	v_subrev_f32_dpp v80, v150, v80 quad_perm:[0,0,0,0] row_mask:0xf bank_mask:0xf// 0000000064F4: 06A0A0FA FF000096
	v_mfma_f32_16x16x16_bf16 v[188:191], v[110:111], v[146:147], v[188:191]// 0000000064FC: D3E100BC 06F3256E
	ds_write_b32 v18, v49 offset:17952                         // 000000006504: D81A4620 00003112
	v_mfma_f32_16x16x16_bf16 v[192:195], v[112:113], v[146:147], v[192:195]// 00000000650C: D3E100C0 07032570
	v_subrev_f32_dpp v81, v150, v81 quad_perm:[1,1,1,1] row_mask:0xf bank_mask:0xf// 000000006514: 06A2A2FA FF005596
	v_subrev_f32_dpp v82, v150, v82 quad_perm:[2,2,2,2] row_mask:0xf bank_mask:0xf// 00000000651C: 06A4A4FA FF00AA96
	v_subrev_f32_dpp v83, v150, v83 quad_perm:[3,3,3,3] row_mask:0xf bank_mask:0xf// 000000006524: 06A6A6FA FF00FF96
	v_mfma_f32_16x16x16_bf16 v[196:199], v[114:115], v[146:147], v[196:199]// 00000000652C: D3E100C4 07132572
	ds_write_b32 v18, v50 offset:19712                         // 000000006534: D81A4D00 00003212
	v_mfma_f32_16x16x16_bf16 v[200:203], v[116:117], v[146:147], v[200:203]// 00000000653C: D3E100C8 07232574
	v_mul_f32_e32 v78, v54, v78                                // 000000006544: 0A9C9D36
	v_mul_f32_e32 v79, v55, v79                                // 000000006548: 0A9E9F37
	v_mul_f32_e32 v80, v56, v80                                // 00000000654C: 0AA0A138
	v_mfma_f32_16x16x16_bf16 v[204:207], v[118:119], v[146:147], v[204:207]// 000000006550: D3E100CC 07332576
	v_mul_f32_e32 v81, v57, v81                                // 000000006558: 0AA2A339
	v_mul_f32_e32 v82, v58, v82                                // 00000000655C: 0AA4A53A
	v_mul_f32_e32 v83, v59, v83                                // 000000006560: 0AA6A73B
	v_mfma_f32_16x16x16_bf16 v[208:211], v[120:121], v[146:147], v[208:211]// 000000006564: D3E100D0 07432578
	v_perm_b32 v75, v79, v78, s64                              // 00000000656C: D1ED004B 01029D4F
	v_perm_b32 v76, v81, v80, s64                              // 000000006574: D1ED004C 0102A151
	v_perm_b32 v77, v83, v82, s64                              // 00000000657C: D1ED004D 0102A553
	v_mfma_f32_16x16x16_bf16 v[212:215], v[122:123], v[146:147], v[212:215]// 000000006584: D3E100D4 0753257A
	v_mov_b32_dpp v16, v75 quad_perm:[1,0,3,2] row_mask:0xf bank_mask:0xf// 00000000658C: 7E2002FA FF00B14B
	v_perm_b32 v51, v16, v75, v15                              // 000000006594: D1ED0033 043E9710
	v_mov_b32_dpp v16, v76 quad_perm:[1,0,3,2] row_mask:0xf bank_mask:0xf// 00000000659C: 7E2002FA FF00B14C
	v_mfma_f32_16x16x16_bf16 v[216:219], v[108:109], v[148:149], v[216:219]// 0000000065A4: D3E100D8 0763296C
	v_perm_b32 v52, v16, v76, v15                              // 0000000065AC: D1ED0034 043E9910
	v_mov_b32_dpp v16, v77 quad_perm:[1,0,3,2] row_mask:0xf bank_mask:0xf// 0000000065B4: 7E2002FA FF00B14D
	v_perm_b32 v53, v16, v77, v15                              // 0000000065BC: D1ED0035 043E9B10
	v_mfma_f32_16x16x16_bf16 v[220:223], v[110:111], v[148:149], v[220:223]// 0000000065C4: D3E100DC 0773296E
	ds_write_b32 v18, v51 offset:20256                         // 0000000065CC: D81A4F20 00003312
	v_mfma_f32_16x16x16_bf16 v[224:227], v[112:113], v[148:149], v[224:227]// 0000000065D4: D3E100E0 07832970
	v_mfma_f32_16x16x16_bf16 v[228:231], v[114:115], v[148:149], v[228:231]// 0000000065DC: D3E100E4 07932972
	ds_write_b32 v18, v52 offset:22016                         // 0000000065E4: D81A5600 00003412
	ds_write_b32 v18, v53 offset:22560                         // 0000000065EC: D81A5820 00003512
	v_mfma_f32_16x16x16_bf16 v[232:235], v[116:117], v[148:149], v[232:235]// 0000000065F4: D3E100E8 07A32974
	v_mfma_f32_16x16x16_bf16 v[236:239], v[118:119], v[148:149], v[236:239]// 0000000065FC: D3E100EC 07B32976
	ds_write_b32 v13, v84 offset:4352                          // 000000006604: D81A1100 0000540D
	ds_write_b32 v13, v85 offset:5408                          // 00000000660C: D81A1520 0000550D
	v_mfma_f32_16x16x16_bf16 v[240:243], v[120:121], v[148:149], v[240:243]// 000000006614: D3E100F0 07C32978
	s_nop 0                                                    // 00000000661C: BF800000
	s_nop 0                                                    // 000000006620: BF800000
	s_nop 0                                                    // 000000006624: BF800000
	v_mfma_f32_16x16x16_bf16 v[244:247], v[122:123], v[148:149], v[244:247]// 000000006628: D3E100F4 07D3297A
	ds_write_b32 v13, v86 offset:4480                          // 000000006630: D81A1180 0000560D
	ds_write_b32 v13, v87 offset:5536                          // 000000006638: D81A15A0 0000570D
	s_barrier                                                  // 000000006640: BF8A0000
	v_mfma_f32_16x16x16_bf16 a[160:163], a[144:145], v[72:73], a[160:163]// 000000006644: D3E180A0 0E829190
	buffer_atomic_add_f32 v136, v7, s[32:35], 0 offen          // 00000000664C: E1341000 80088807
	v_mfma_f32_16x16x16_bf16 a[164:167], a[146:147], v[72:73], a[164:167]// 000000006654: D3E180A4 0E929192
	ds_read_b32 v124, v21 offset:51200                         // 00000000665C: D86CC800 7C000015
	ds_read_b32 v150, v21 offset:51456                         // 000000006664: D86CC900 96000015
	v_mfma_f32_16x16x16_bf16 a[168:171], a[148:149], v[72:73], a[168:171]// 00000000666C: D3E180A8 0EA29194
	s_waitcnt lgkmcnt(6)                                       // 000000006674: BF8CC67F
	s_barrier                                                  // 000000006678: BF8A0000
	v_mfma_f32_16x16x16_bf16 a[172:175], a[150:151], v[72:73], a[172:175]// 00000000667C: D3E180AC 0EB29196
	ds_read_b128 v[48:51], v17 offset:17408                    // 000000006684: D9FE4400 30000011
	v_mfma_f32_16x16x16_bf16 a[176:179], a[152:153], v[72:73], a[176:179]// 00000000668C: D3E180B0 0EC29198
	v_mfma_f32_16x16x16_bf16 a[180:183], a[154:155], v[72:73], a[180:183]// 000000006694: D3E180B4 0ED2919A
	ds_read_b128 v[52:55], v17 offset:18560                    // 00000000669C: D9FE4880 34000011
	v_mfma_f32_16x16x16_bf16 a[184:187], a[156:157], v[72:73], a[184:187]// 0000000066A4: D3E180B8 0EE2919C
	buffer_atomic_add_f32 v137, v8, s[32:35], 0 offen          // 0000000066AC: E1341000 80088908
	v_mfma_f32_16x16x16_bf16 a[188:191], a[158:159], v[72:73], a[188:191]// 0000000066B4: D3E180BC 0EF2919E
	ds_read_b128 v[56:59], v17 offset:19712                    // 0000000066BC: D9FE4D00 38000011
	v_mfma_f32_16x16x16_bf16 a[192:195], a[144:145], v[74:75], a[192:195]// 0000000066C4: D3E180C0 0F029590
	v_mfma_f32_16x16x16_bf16 a[196:199], a[146:147], v[74:75], a[196:199]// 0000000066CC: D3E180C4 0F129592
	ds_read_b128 v[60:63], v17 offset:20864                    // 0000000066D4: D9FE5180 3C000011
	v_mfma_f32_16x16x16_bf16 a[200:203], a[148:149], v[74:75], a[200:203]// 0000000066DC: D3E180C8 0F229594
	v_mfma_f32_16x16x16_bf16 a[204:207], a[150:151], v[74:75], a[204:207]// 0000000066E4: D3E180CC 0F329596
	ds_read_b128 v[64:67], v17 offset:22016                    // 0000000066EC: D9FE5600 40000011
	v_mfma_f32_16x16x16_bf16 a[208:211], a[152:153], v[74:75], a[208:211]// 0000000066F4: D3E180D0 0F429598
	buffer_atomic_add_f32 v138, v7, s[32:35], 0 offen offset:128// 0000000066FC: E1341080 80088A07
	v_mfma_f32_16x16x16_bf16 a[212:215], a[154:155], v[74:75], a[212:215]// 000000006704: D3E180D4 0F52959A
	ds_read_b128 v[68:71], v17 offset:23168                    // 00000000670C: D9FE5A80 44000011
	v_mfma_f32_16x16x16_bf16 a[216:219], a[156:157], v[74:75], a[216:219]// 000000006714: D3E180D8 0F62959C
	v_mfma_f32_16x16x16_bf16 a[220:223], a[158:159], v[74:75], a[220:223]// 00000000671C: D3E180DC 0F72959E
	ds_write_b32 v13, v88 offset:13056                         // 000000006724: D81A3300 0000580D
	v_mfma_f32_16x16x16_bf16 a[224:227], a[144:145], v[76:77], a[224:227]// 00000000672C: D3E180E0 0F829990
	v_mfma_f32_16x16x16_bf16 a[228:231], a[146:147], v[76:77], a[228:231]// 000000006734: D3E180E4 0F929992
	ds_write_b32 v13, v89 offset:14112                         // 00000000673C: D81A3720 0000590D
	v_mfma_f32_16x16x16_bf16 a[232:235], a[148:149], v[76:77], a[232:235]// 000000006744: D3E180E8 0FA29994
	buffer_atomic_add_f32 v139, v8, s[32:35], 0 offen offset:128// 00000000674C: E1341080 80088B08
	v_mfma_f32_16x16x16_bf16 a[236:239], a[150:151], v[76:77], a[236:239]// 000000006754: D3E180EC 0FB29996
	ds_write_b32 v13, v90 offset:13184                         // 00000000675C: D81A3380 00005A0D
	v_mfma_f32_16x16x16_bf16 a[240:243], a[152:153], v[76:77], a[240:243]// 000000006764: D3E180F0 0FC29998
	v_mfma_f32_16x16x16_bf16 a[244:247], a[154:155], v[76:77], a[244:247]// 00000000676C: D3E180F4 0FD2999A
	ds_write_b32 v13, v91 offset:14240                         // 000000006774: D81A37A0 00005B0D
	v_mfma_f32_16x16x16_bf16 a[248:251], a[156:157], v[76:77], a[248:251]// 00000000677C: D3E180F8 0FE2999C
	v_mfma_f32_16x16x16_bf16 a[252:255], a[158:159], v[76:77], a[252:255]// 000000006784: D3E180FC 0FF2999E
	s_waitcnt vmcnt(8) lgkmcnt(4)                              // 00000000678C: BF8C0478
	s_barrier                                                  // 000000006790: BF8A0000
	v_mfma_f32_16x16x16_bf16 v[128:131], v[48:49], a[48:49], 0 // 000000006794: D3E10080 12026130
	v_mul_f32_e32 v124, s48, v124                              // 00000000679C: 0AF8F830
	s_nop 0                                                    // 0000000067A0: BF800000
	v_mfma_f32_16x16x16_bf16 v[128:131], v[50:51], a[52:53], v[128:131]// 0000000067A4: D3E10080 16026932
	ds_read_b128 a[144:147], v10                               // 0000000067AC: DBFE0000 9000000A
	buffer_load_dword v36, v1, s[8:11], 0 idxen                // 0000000067B4: E0502000 80022401
	v_mfma_f32_16x16x16_bf16 v[128:131], v[52:53], a[56:57], v[128:131]// 0000000067BC: D3E10080 16027134
	v_mfma_f32_16x16x16_bf16 v[128:131], v[54:55], a[60:61], v[128:131]// 0000000067C4: D3E10080 16027936
	ds_read_b128 a[148:151], v10 offset:512                    // 0000000067CC: DBFE0200 9400000A
	buffer_load_dword v37, v2, s[8:11], 0 idxen                // 0000000067D4: E0502000 80022502
	v_mfma_f32_16x16x16_bf16 v[128:131], v[56:57], a[64:65], v[128:131]// 0000000067DC: D3E10080 16028138
	v_perm_b32 v84, v33, v32, s63                              // 0000000067E4: D1ED0054 00FE4121
	v_perm_b32 v85, v33, v32, s64                              // 0000000067EC: D1ED0055 01024121
	v_mfma_f32_16x16x16_bf16 v[128:131], v[58:59], a[68:69], v[128:131]// 0000000067F4: D3E10080 1602893A
	ds_read_b128 a[152:155], v10 offset:2176                   // 0000000067FC: DBFE0880 9800000A
	buffer_load_dword v38, v3, s[8:11], 0 idxen                // 000000006804: E0502000 80022603
	v_mfma_f32_16x16x16_bf16 v[128:131], v[60:61], a[72:73], v[128:131]// 00000000680C: D3E10080 1602913C
	v_perm_b32 v86, v35, v34, s63                              // 000000006814: D1ED0056 00FE4523
	v_perm_b32 v87, v35, v34, s64                              // 00000000681C: D1ED0057 01024523
	v_mfma_f32_16x16x16_bf16 v[128:131], v[62:63], a[76:77], v[128:131]// 000000006824: D3E10080 1602993E
	ds_read_b128 a[156:159], v10 offset:2688                   // 00000000682C: DBFE0A80 9C00000A
	buffer_load_dword v39, v4, s[8:11], 0 idxen                // 000000006834: E0502000 80022704
	v_mfma_f32_16x16x16_bf16 v[128:131], v[64:65], a[80:81], v[128:131]// 00000000683C: D3E10080 1602A140
	v_perm_b32 v88, v41, v40, s63                              // 000000006844: D1ED0058 00FE5129
	v_perm_b32 v89, v41, v40, s64                              // 00000000684C: D1ED0059 01025129
	v_mfma_f32_16x16x16_bf16 v[128:131], v[66:67], a[84:85], v[128:131]// 000000006854: D3E10080 1602A942
	ds_read_b128 v[92:95], v10 offset:8704                     // 00000000685C: D9FE2200 5C00000A
	buffer_load_dword v44, v252, s[20:23], 0 idxen             // 000000006864: E0502000 80052CFC
	v_mfma_f32_16x16x16_bf16 v[128:131], v[68:69], a[88:89], v[128:131]// 00000000686C: D3E10080 1602B144
	v_perm_b32 v90, v43, v42, s63                              // 000000006874: D1ED005A 00FE552B
	v_perm_b32 v91, v43, v42, s64                              // 00000000687C: D1ED005B 0102552B
	v_mfma_f32_16x16x16_bf16 v[128:131], v[70:71], a[92:93], v[128:131]// 000000006884: D3E10080 1602B946
	ds_read_b128 v[96:99], v10 offset:9216                     // 00000000688C: D9FE2400 6000000A
	buffer_load_dword v45, v253, s[20:23], 0 idxen             // 000000006894: E0502000 80052DFD
	v_mfma_f32_16x16x16_bf16 v[132:135], v[48:49], a[50:51], 0 // 00000000689C: D3E10084 12026530
	v_mov_b32_dpp v127, v124 quad_perm:[3,3,3,3] row_mask:0xf bank_mask:0xf// 0000000068A4: 7EFE02FA FF00FF7C
	v_mov_b32_dpp v126, v124 quad_perm:[2,2,2,2] row_mask:0xf bank_mask:0xf// 0000000068AC: 7EFC02FA FF00AA7C
	v_mfma_f32_16x16x16_bf16 v[132:135], v[50:51], a[54:55], v[132:135]// 0000000068B4: D3E10084 16126D32
	ds_read_b128 v[100:103], v10 offset:10880                  // 0000000068BC: D9FE2A80 6400000A
	buffer_load_dword v46, v254, s[20:23], 0 idxen             // 0000000068C4: E0502000 80052EFE
	v_mfma_f32_16x16x16_bf16 v[132:135], v[52:53], a[58:59], v[132:135]// 0000000068CC: D3E10084 16127534
	v_mov_b32_dpp v125, v124 quad_perm:[1,1,1,1] row_mask:0xf bank_mask:0xf// 0000000068D4: 7EFA02FA FF00557C
	v_mov_b32_dpp v124, v124 quad_perm:[0,0,0,0] row_mask:0xf bank_mask:0xf// 0000000068DC: 7EF802FA FF00007C
	s_add_u32 s60, 64, s59                                     // 0000000068E4: 803C3BC0
	v_mfma_f32_16x16x16_bf16 v[132:135], v[54:55], a[62:63], v[132:135]// 0000000068E8: D3E10084 16127D36
	ds_read_b128 v[104:107], v10 offset:11392                  // 0000000068F0: D9FE2C80 6800000A
	buffer_load_dword v47, v255, s[20:23], 0 idxen             // 0000000068F8: E0502000 80052FFF
	v_mfma_f32_16x16x16_bf16 v[132:135], v[56:57], a[66:67], v[132:135]// 000000006900: D3E10084 16128538
	s_cmp_lt_u32 s60, s58                                      // 000000006908: BF0A3A3C
	s_cselect_b32 s68, s68, 0                                  // 00000000690C: 85448044
	s_cselect_b32 s101, s101, 0                                // 000000006910: 85658065
	s_cselect_b32 s69, s69, 0                                  // 000000006914: 85458045
	v_mfma_f32_16x16x16_bf16 v[132:135], v[58:59], a[70:71], v[132:135]// 000000006918: D3E10084 16128D3A
	buffer_load_dword v9, s[24:27], 0 idxen lds                // 000000006920: E0512000 80060009
	v_mfma_f32_16x16x16_bf16 v[132:135], v[60:61], a[74:75], v[132:135]// 000000006928: D3E10084 1612953C
	v_add_u32_e32 v1, s68, v1                                  // 000000006930: 68020244
	v_add_u32_e32 v2, s68, v2                                  // 000000006934: 68040444
	;; [unrolled: 1-line block ×3, first 2 shown]
	v_add_u32_e32 v4, s68, v4                                  // 00000000693C: 68080844
	v_mfma_f32_16x16x16_bf16 v[132:135], v[62:63], a[78:79], v[132:135]// 000000006940: D3E10084 16129D3E
	v_add_u32_e32 v252, s101, v252                             // 000000006948: 69F9F865
	v_add_u32_e32 v253, s101, v253                             // 00000000694C: 69FBFA65
	v_add_u32_e32 v254, s101, v254                             // 000000006950: 69FDFC65
	v_add_u32_e32 v255, s101, v255                             // 000000006954: 69FFFE65
	v_mfma_f32_16x16x16_bf16 v[132:135], v[64:65], a[82:83], v[132:135]// 000000006958: D3E10084 1612A540
	s_mov_b32 m0, s76                                          // 000000006960: BEFC004C
	v_add_u32_e32 v9, s69, v9                                  // 000000006964: 68121245
	v_mfma_f32_16x16x16_bf16 v[132:135], v[66:67], a[86:87], v[132:135]// 000000006968: D3E10084 1612AD42
	s_cmp_ge_u32 s59, 16                                       // 000000006970: BF09903B
	s_cselect_b32 s66, s67, s66                                // 000000006974: 85424243
	v_mfma_f32_16x16x16_bf16 v[132:135], v[68:69], a[90:91], v[132:135]// 000000006978: D3E10084 1612B544
	s_addk_i32 s59, 0x10                                       // 000000006980: B73B0010
	s_nop 0                                                    // 000000006984: BF800000
	s_cmp_lt_i32 s59, s58                                      // 000000006988: BF043A3B
	v_mfma_f32_16x16x16_bf16 v[132:135], v[70:71], a[94:95], v[132:135]// 00000000698C: D3E10084 1612BD46
	s_cbranch_scc0 label_0D7E                                  // 000000006994: BF84028E
	s_waitcnt lgkmcnt(0)                                       // 000000006998: BF8CC07F
	s_barrier                                                  // 00000000699C: BF8A0000
	v_mfma_f32_16x16x16_bf16 v[48:51], a[144:145], a[0:1], 0   // 0000000069A0: D3E10030 1A020190
	ds_write_b32 v11, v40 offset:8704                          // 0000000069A8: D81A2200 0000280B
	ds_write_b32 v11, v41 offset:9760                          // 0000000069B0: D81A2620 0000290B
	v_mfma_f32_16x16x16_bf16 v[48:51], a[146:147], a[2:3], v[48:51]// 0000000069B8: D3E10030 1CC20592
	v_mul_f32_e32 v128, s47, v128                              // 0000000069C0: 0B01002F
	v_mul_f32_e32 v129, s47, v129                              // 0000000069C4: 0B03022F
	v_mfma_f32_16x16x16_bf16 v[48:51], a[148:149], a[4:5], v[48:51]// 0000000069C8: D3E10030 1CC20994
	ds_write_b32 v11, v42 offset:8832                          // 0000000069D0: D81A2280 00002A0B
	ds_write_b32 v11, v43 offset:9888                          // 0000000069D8: D81A26A0 00002B0B
	v_mfma_f32_16x16x16_bf16 v[48:51], a[150:151], a[6:7], v[48:51]// 0000000069E0: D3E10030 1CC20D96
	v_mul_f32_e32 v130, s47, v130                              // 0000000069E8: 0B05042F
	v_mul_f32_e32 v131, s47, v131                              // 0000000069EC: 0B07062F
	v_mfma_f32_16x16x16_bf16 v[48:51], a[152:153], a[8:9], v[48:51]// 0000000069F0: D3E10030 1CC21198
	ds_write_b64 v20, v[128:129] offset:24320                  // 0000000069F8: D89A5F00 00008014
	v_mfma_f32_16x16x16_bf16 v[48:51], a[154:155], a[10:11], v[48:51]// 000000006A00: D3E10030 1CC2159A
	v_mul_f32_e32 v132, s47, v132                              // 000000006A08: 0B09082F
	v_mul_f32_e32 v133, s47, v133                              // 000000006A0C: 0B0B0A2F
	v_mfma_f32_16x16x16_bf16 v[48:51], a[156:157], a[12:13], v[48:51]// 000000006A10: D3E10030 1CC2199C
	ds_write_b64 v20, v[130:131] offset:24832                  // 000000006A18: D89A6100 00008214
	v_mfma_f32_16x16x16_bf16 v[48:51], a[158:159], a[14:15], v[48:51]// 000000006A20: D3E10030 1CC21D9E
	v_mul_f32_e32 v134, s47, v134                              // 000000006A28: 0B0D0C2F
	v_mul_f32_e32 v135, s47, v135                              // 000000006A2C: 0B0F0E2F
	v_mfma_f32_16x16x16_bf16 v[52:55], a[144:145], a[16:17], 0 // 000000006A30: D3E10034 1A022190
	ds_write_b64 v20, v[132:133] offset:25344                  // 000000006A38: D89A6300 00008414
	v_mfma_f32_16x16x16_bf16 v[52:55], a[146:147], a[18:19], v[52:55]// 000000006A40: D3E10034 1CD22592
	buffer_atomic_add_f32 v140, v7, s[32:35], 0 offen offset:256// 000000006A48: E1341100 80088C07
	v_mfma_f32_16x16x16_bf16 v[52:55], a[148:149], a[20:21], v[52:55]// 000000006A50: D3E10034 1CD22994
	ds_write_b64 v20, v[134:135] offset:25856                  // 000000006A58: D89A6500 00008614
	v_mfma_f32_16x16x16_bf16 v[52:55], a[150:151], a[22:23], v[52:55]// 000000006A60: D3E10034 1CD22D96
	v_mfma_f32_16x16x16_bf16 v[52:55], a[152:153], a[24:25], v[52:55]// 000000006A68: D3E10034 1CD23198
	ds_read_b128 v[108:111], v12 offset:13056                  // 000000006A70: D9FE3300 6C00000C
	ds_write_b32 v11, v32                                      // 000000006A78: D81A0000 0000200B
	v_mfma_f32_16x16x16_bf16 v[52:55], a[154:155], a[26:27], v[52:55]// 000000006A80: D3E10034 1CD2359A
	buffer_atomic_add_f32 v141, v8, s[32:35], 0 offen offset:256// 000000006A88: E1341100 80088D08
	v_mfma_f32_16x16x16_bf16 v[52:55], a[156:157], a[28:29], v[52:55]// 000000006A90: D3E10034 1CD2399C
	v_mfma_f32_16x16x16_bf16 v[52:55], a[158:159], a[30:31], v[52:55]// 000000006A98: D3E10034 1CD23D9E
	ds_read_b128 v[112:115], v12 offset:13568                  // 000000006AA0: D9FE3500 7000000C
	ds_write_b32 v11, v33 offset:1056                          // 000000006AA8: D81A0420 0000210B
	v_mfma_f32_16x16x16_bf16 v[56:59], a[144:145], a[32:33], 0 // 000000006AB0: D3E10038 1A024190
	buffer_atomic_add_f32 v142, v7, s[32:35], 0 offen offset:384// 000000006AB8: E1341180 80088E07
	v_mfma_f32_16x16x16_bf16 v[56:59], a[146:147], a[34:35], v[56:59]// 000000006AC0: D3E10038 1CE24592
	v_mfma_f32_16x16x16_bf16 v[56:59], a[148:149], a[36:37], v[56:59]// 000000006AC8: D3E10038 1CE24994
	ds_read_b128 v[116:119], v12 offset:15232                  // 000000006AD0: D9FE3B80 7400000C
	ds_write_b32 v11, v34 offset:128                           // 000000006AD8: D81A0080 0000220B
	v_mfma_f32_16x16x16_bf16 v[56:59], a[150:151], a[38:39], v[56:59]// 000000006AE0: D3E10038 1CE24D96
	v_mfma_f32_16x16x16_bf16 v[56:59], a[152:153], a[40:41], v[56:59]// 000000006AE8: D3E10038 1CE25198
	buffer_atomic_add_f32 v143, v8, s[32:35], 0 offen offset:384// 000000006AF0: E1341180 80088F08
	v_mfma_f32_16x16x16_bf16 v[56:59], a[154:155], a[42:43], v[56:59]// 000000006AF8: D3E10038 1CE2559A
	ds_read_b128 v[120:123], v12 offset:15744                  // 000000006B00: D9FE3D80 7800000C
	ds_write_b32 v11, v35 offset:1184                          // 000000006B08: D81A04A0 0000230B
	v_mfma_f32_16x16x16_bf16 v[56:59], a[156:157], a[44:45], v[56:59]// 000000006B10: D3E10038 1CE2599C
	v_mfma_f32_16x16x16_bf16 v[56:59], a[158:159], a[46:47], v[56:59]// 000000006B18: D3E10038 1CE25D9E
	s_cmp_lt_i32 s81, 0xc0                                     // 000000006B20: BF04FF51 000000C0
	s_cbranch_scc0 label_0BA2                                  // 000000006B28: BF84004D
	s_cmp_le_i32 s81, 64                                       // 000000006B2C: BF05C051
	s_cbranch_scc1 label_0B59                                  // 000000006B30: BF850007
	s_cmp_le_i32 s81, 0x80                                     // 000000006B34: BF05FF51 00000080
	s_cbranch_scc1 label_0B71                                  // 000000006B3C: BF850017
	s_cmp_lt_i32 s81, 0xc0                                     // 000000006B40: BF04FF51 000000C0
	s_cbranch_scc1 label_0B89                                  // 000000006B48: BF85002C
	s_branch label_0BA2                                        // 000000006B4C: BF820044

0000000000006b50 <label_0B59>:
	s_mov_b32 s60, 0                                           // 000000006B50: BEBC0080
	v_and_b32_e32 v28, 15, v0                                  // 000000006B54: 2638008F
	v_add_u32_e64 v28, v28, s60                                // 000000006B58: D134001C 0000791C
	v_mul_i32_i24_e64 v29, s46, 16                             // 000000006B60: D106001D 0001202E
	v_add_u32_e32 v28, v28, v29                                // 000000006B68: 68383B1C
	v_cmp_lt_u32_e64 s[60:61], v28, s81                        // 000000006B6C: D0C9003C 0000A31C
	s_nop 1                                                    // 000000006B74: BF800001
	v_cndmask_b32_e64 v48, v151, v48, s[60:61]                 // 000000006B78: D1000030 00F26197
	v_cndmask_b32_e64 v49, v151, v49, s[60:61]                 // 000000006B80: D1000031 00F26397
	v_cndmask_b32_e64 v50, v151, v50, s[60:61]                 // 000000006B88: D1000032 00F26597
	v_cndmask_b32_e64 v51, v151, v51, s[60:61]                 // 000000006B90: D1000033 00F26797
	s_branch label_0B84                                        // 000000006B98: BF820013

0000000000006b9c <label_0B71>:
	s_mov_b32 s60, 64                                          // 000000006B9C: BEBC00C0
	v_and_b32_e32 v28, 15, v0                                  // 000000006BA0: 2638008F
	v_add_u32_e64 v28, v28, s60                                // 000000006BA4: D134001C 0000791C
	v_mul_i32_i24_e64 v29, s46, 16                             // 000000006BAC: D106001D 0001202E
	v_add_u32_e32 v28, v28, v29                                // 000000006BB4: 68383B1C
	v_cmp_lt_u32_e64 s[60:61], v28, s81                        // 000000006BB8: D0C9003C 0000A31C
	s_nop 1                                                    // 000000006BC0: BF800001
	v_cndmask_b32_e64 v52, v151, v52, s[60:61]                 // 000000006BC4: D1000034 00F26997
	v_cndmask_b32_e64 v53, v151, v53, s[60:61]                 // 000000006BCC: D1000035 00F26B97
	v_cndmask_b32_e64 v54, v151, v54, s[60:61]                 // 000000006BD4: D1000036 00F26D97
	v_cndmask_b32_e64 v55, v151, v55, s[60:61]                 // 000000006BDC: D1000037 00F26F97
	s_branch label_0B9D                                        // 000000006BE4: BF820019

0000000000006be8 <label_0B84>:
	v_mov_b32_e32 v52, v151                                    // 000000006BE8: 7E680397
	v_mov_b32_e32 v53, v151                                    // 000000006BEC: 7E6A0397
	v_mov_b32_e32 v54, v151                                    // 000000006BF0: 7E6C0397
	v_mov_b32_e32 v55, v151                                    // 000000006BF4: 7E6E0397
	s_branch label_0B9D                                        // 000000006BF8: BF820014

0000000000006bfc <label_0B89>:
	s_mov_b32 s60, 0x80                                        // 000000006BFC: BEBC00FF 00000080
	v_and_b32_e32 v28, 15, v0                                  // 000000006C04: 2638008F
	v_add_u32_e64 v28, v28, s60                                // 000000006C08: D134001C 0000791C
	v_mul_i32_i24_e64 v29, s46, 16                             // 000000006C10: D106001D 0001202E
	v_add_u32_e32 v28, v28, v29                                // 000000006C18: 68383B1C
	v_cmp_lt_u32_e64 s[60:61], v28, s81                        // 000000006C1C: D0C9003C 0000A31C
	s_nop 1                                                    // 000000006C24: BF800001
	v_cndmask_b32_e64 v56, v151, v56, s[60:61]                 // 000000006C28: D1000038 00F27197
	v_cndmask_b32_e64 v57, v151, v57, s[60:61]                 // 000000006C30: D1000039 00F27397
	v_cndmask_b32_e64 v58, v151, v58, s[60:61]                 // 000000006C38: D100003A 00F27597
	v_cndmask_b32_e64 v59, v151, v59, s[60:61]                 // 000000006C40: D100003B 00F27797
	s_branch label_0BA2                                        // 000000006C48: BF820005

0000000000006c4c <label_0B9D>:
	v_mov_b32_e32 v56, v151                                    // 000000006C4C: 7E700397
	v_mov_b32_e32 v57, v151                                    // 000000006C50: 7E720397
	v_mov_b32_e32 v58, v151                                    // 000000006C54: 7E740397
	v_mov_b32_e32 v59, v151                                    // 000000006C58: 7E760397
	s_branch label_0BA2                                        // 000000006C5C: BF820000

0000000000006c60 <label_0BA2>:
	s_waitcnt lgkmcnt(8)                                       // 000000006C60: BF8CC87F
	s_barrier                                                  // 000000006C64: BF8A0000
	v_mfma_f32_16x16x16_bf16 v[72:75], v[92:93], a[96:97], 0   // 000000006C68: D3E10048 1202C15C
	ds_read_b128 a[144:147], v12 offset:4352                   // 000000006C70: DBFE1100 9000000C
	ds_read_b128 a[148:151], v12 offset:4864                   // 000000006C78: DBFE1300 9400000C
	v_mfma_f32_16x16x16_bf16 v[72:75], v[94:95], a[98:99], v[72:75]// 000000006C80: D3E10048 1522C55E
	v_fma_f32 v48, v48, s57, -v124                             // 000000006C88: D1CB0030 85F07330
	v_fma_f32 v49, v49, s57, -v125                             // 000000006C90: D1CB0031 85F47331
	v_fma_f32 v50, v50, s57, -v126                             // 000000006C98: D1CB0032 85F87332
	v_mfma_f32_16x16x16_bf16 v[72:75], v[96:97], a[100:101], v[72:75]// 000000006CA0: D3E10048 1522C960
	v_fma_f32 v51, v51, s57, -v127                             // 000000006CA8: D1CB0033 85FC7333
	v_fma_f32 v52, v52, s57, -v124                             // 000000006CB0: D1CB0034 85F07334
	v_fma_f32 v53, v53, s57, -v125                             // 000000006CB8: D1CB0035 85F47335
	v_mfma_f32_16x16x16_bf16 v[72:75], v[98:99], a[102:103], v[72:75]// 000000006CC0: D3E10048 1522CD62
	v_fma_f32 v54, v54, s57, -v126                             // 000000006CC8: D1CB0036 85F87336
	v_fma_f32 v55, v55, s57, -v127                             // 000000006CD0: D1CB0037 85FC7337
	v_fma_f32 v56, v56, s57, -v124                             // 000000006CD8: D1CB0038 85F07338
	v_mfma_f32_16x16x16_bf16 v[72:75], v[100:101], a[104:105], v[72:75]// 000000006CE0: D3E10048 1522D164
	ds_read_b128 a[152:155], v12 offset:6528                   // 000000006CE8: DBFE1980 9800000C
	ds_read_b128 a[156:159], v12 offset:7040                   // 000000006CF0: DBFE1B80 9C00000C
	v_mfma_f32_16x16x16_bf16 v[72:75], v[102:103], a[106:107], v[72:75]// 000000006CF8: D3E10048 1522D566
	v_fma_f32 v57, v57, s57, -v125                             // 000000006D00: D1CB0039 85F47339
	v_fma_f32 v58, v58, s57, -v126                             // 000000006D08: D1CB003A 85F8733A
	v_fma_f32 v59, v59, s57, -v127                             // 000000006D10: D1CB003B 85FC733B
	v_mfma_f32_16x16x16_bf16 v[72:75], v[104:105], a[108:109], v[72:75]// 000000006D18: D3E10048 1522D968
	v_exp_f32_e32 v48, v48                                     // 000000006D20: 7E604130
	v_mfma_f32_16x16x16_bf16 v[72:75], v[106:107], a[110:111], v[72:75]// 000000006D24: D3E10048 1522DD6A
	v_exp_f32_e32 v49, v49                                     // 000000006D2C: 7E624131
	v_mfma_f32_16x16x16_bf16 v[76:79], v[92:93], a[112:113], 0 // 000000006D30: D3E1004C 1202E15C
	ds_read_b64 v[136:137], v19 offset:24320                   // 000000006D38: D8EC5F00 88000013
	ds_read_b64 v[138:139], v19 offset:26368                   // 000000006D40: D8EC6700 8A000013
	v_mfma_f32_16x16x16_bf16 v[76:79], v[94:95], a[114:115], v[76:79]// 000000006D48: D3E1004C 1532E55E
	v_exp_f32_e32 v50, v50                                     // 000000006D50: 7E644132
	v_mfma_f32_16x16x16_bf16 v[76:79], v[96:97], a[116:117], v[76:79]// 000000006D54: D3E1004C 1532E960
	ds_read_b64 v[140:141], v19 offset:28416                   // 000000006D5C: D8EC6F00 8C000013
	ds_read_b64 v[142:143], v19 offset:30464                   // 000000006D64: D8EC7700 8E000013
	v_mfma_f32_16x16x16_bf16 v[76:79], v[98:99], a[118:119], v[76:79]// 000000006D6C: D3E1004C 1532ED62
	v_exp_f32_e32 v51, v51                                     // 000000006D74: 7E664133
	v_mfma_f32_16x16x16_bf16 v[76:79], v[100:101], a[120:121], v[76:79]// 000000006D78: D3E1004C 1532F164
	v_exp_f32_e32 v52, v52                                     // 000000006D80: 7E684134
	v_mfma_f32_16x16x16_bf16 v[76:79], v[102:103], a[122:123], v[76:79]// 000000006D84: D3E1004C 1532F566
	v_exp_f32_e32 v53, v53                                     // 000000006D8C: 7E6A4135
	v_mfma_f32_16x16x16_bf16 v[76:79], v[104:105], a[124:125], v[76:79]// 000000006D90: D3E1004C 1532F968
	v_exp_f32_e32 v54, v54                                     // 000000006D98: 7E6C4136
	v_mfma_f32_16x16x16_bf16 v[76:79], v[106:107], a[126:127], v[76:79]// 000000006D9C: D3E1004C 1532FD6A
	v_exp_f32_e32 v55, v55                                     // 000000006DA4: 7E6E4137
	v_mfma_f32_16x16x16_bf16 v[80:83], v[92:93], a[128:129], 0 // 000000006DA8: D3E10050 1203015C
	v_exp_f32_e32 v56, v56                                     // 000000006DB0: 7E704138
	v_mfma_f32_16x16x16_bf16 v[80:83], v[94:95], a[130:131], v[80:83]// 000000006DB4: D3E10050 1543055E
	v_exp_f32_e32 v57, v57                                     // 000000006DBC: 7E724139
	v_mfma_f32_16x16x16_bf16 v[80:83], v[96:97], a[132:133], v[80:83]// 000000006DC0: D3E10050 15430960
	v_exp_f32_e32 v58, v58                                     // 000000006DC8: 7E74413A
	v_mfma_f32_16x16x16_bf16 v[80:83], v[98:99], a[134:135], v[80:83]// 000000006DCC: D3E10050 15430D62
	v_exp_f32_e32 v59, v59                                     // 000000006DD4: 7E76413B
	v_mfma_f32_16x16x16_bf16 v[80:83], v[100:101], a[136:137], v[80:83]// 000000006DD8: D3E10050 15431164
	v_perm_b32 v144, v49, v48, s64                             // 000000006DE0: D1ED0090 01026131
	v_perm_b32 v145, v51, v50, s64                             // 000000006DE8: D1ED0091 01026533
	v_perm_b32 v146, v53, v52, s64                             // 000000006DF0: D1ED0092 01026935
	v_mfma_f32_16x16x16_bf16 v[80:83], v[102:103], a[138:139], v[80:83]// 000000006DF8: D3E10050 15431566
	v_perm_b32 v147, v55, v54, s64                             // 000000006E00: D1ED0093 01026D37
	v_perm_b32 v148, v57, v56, s64                             // 000000006E08: D1ED0094 01027139
	v_perm_b32 v149, v59, v58, s64                             // 000000006E10: D1ED0095 0102753B
	v_mfma_f32_16x16x16_bf16 v[80:83], v[104:105], a[140:141], v[80:83]// 000000006E18: D3E10050 15431968
	v_add_u32_e32 v7, s66, v7                                  // 000000006E20: 680E0E42
	v_add_u32_e32 v8, s66, v8                                  // 000000006E24: 68101042
	v_mfma_f32_16x16x16_bf16 v[80:83], v[106:107], a[142:143], v[80:83]// 000000006E28: D3E10050 15431D6A
	s_waitcnt lgkmcnt(0)                                       // 000000006E30: BF8CC07F
	s_barrier                                                  // 000000006E34: BF8A0000
	v_mfma_f32_16x16x16_bf16 v[152:155], v[108:109], v[144:145], v[152:155]// 000000006E38: D3E10098 0663216C
	v_subrev_f32_dpp v72, v150, v72 quad_perm:[0,0,0,0] row_mask:0xf bank_mask:0xf// 000000006E40: 069090FA FF000096
	v_subrev_f32_dpp v73, v150, v73 quad_perm:[1,1,1,1] row_mask:0xf bank_mask:0xf// 000000006E48: 069292FA FF005596
	v_subrev_f32_dpp v74, v150, v74 quad_perm:[2,2,2,2] row_mask:0xf bank_mask:0xf// 000000006E50: 069494FA FF00AA96
	v_mfma_f32_16x16x16_bf16 v[156:159], v[110:111], v[144:145], v[156:159]// 000000006E58: D3E1009C 0673216E
	v_subrev_f32_dpp v75, v150, v75 quad_perm:[3,3,3,3] row_mask:0xf bank_mask:0xf// 000000006E60: 069696FA FF00FF96
	v_subrev_f32_dpp v76, v150, v76 quad_perm:[0,0,0,0] row_mask:0xf bank_mask:0xf// 000000006E68: 069898FA FF000096
	v_subrev_f32_dpp v77, v150, v77 quad_perm:[1,1,1,1] row_mask:0xf bank_mask:0xf// 000000006E70: 069A9AFA FF005596
	v_mfma_f32_16x16x16_bf16 v[160:163], v[112:113], v[144:145], v[160:163]// 000000006E78: D3E100A0 06832170
	v_mul_f32_e32 v72, v48, v72                                // 000000006E80: 0A909130
	v_mul_f32_e32 v73, v49, v73                                // 000000006E84: 0A929331
	v_mul_f32_e32 v74, v50, v74                                // 000000006E88: 0A949532
	v_mfma_f32_16x16x16_bf16 v[164:167], v[114:115], v[144:145], v[164:167]// 000000006E8C: D3E100A4 06932172
	v_mul_f32_e32 v75, v51, v75                                // 000000006E94: 0A969733
	v_mul_f32_e32 v76, v52, v76                                // 000000006E98: 0A989934
	v_mul_f32_e32 v77, v53, v77                                // 000000006E9C: 0A9A9B35
	v_mfma_f32_16x16x16_bf16 v[168:171], v[116:117], v[144:145], v[168:171]// 000000006EA0: D3E100A8 06A32174
	v_perm_b32 v72, v73, v72, s64                              // 000000006EA8: D1ED0048 01029149
	v_perm_b32 v73, v75, v74, s64                              // 000000006EB0: D1ED0049 0102954B
	v_perm_b32 v74, v77, v76, s64                              // 000000006EB8: D1ED004A 0102994D
	v_mfma_f32_16x16x16_bf16 v[172:175], v[118:119], v[144:145], v[172:175]// 000000006EC0: D3E100AC 06B32176
	v_mov_b32_dpp v16, v72 quad_perm:[1,0,3,2] row_mask:0xf bank_mask:0xf// 000000006EC8: 7E2002FA FF00B148
	v_perm_b32 v48, v16, v72, v15                              // 000000006ED0: D1ED0030 043E9110
	v_mov_b32_dpp v16, v73 quad_perm:[1,0,3,2] row_mask:0xf bank_mask:0xf// 000000006ED8: 7E2002FA FF00B149
	v_mfma_f32_16x16x16_bf16 v[176:179], v[120:121], v[144:145], v[176:179]// 000000006EE0: D3E100B0 06C32178
	v_perm_b32 v49, v16, v73, v15                              // 000000006EE8: D1ED0031 043E9310
	v_mov_b32_dpp v16, v74 quad_perm:[1,0,3,2] row_mask:0xf bank_mask:0xf// 000000006EF0: 7E2002FA FF00B14A
	v_perm_b32 v50, v16, v74, v15                              // 000000006EF8: D1ED0032 043E9510
	v_mfma_f32_16x16x16_bf16 v[180:183], v[122:123], v[144:145], v[180:183]// 000000006F00: D3E100B4 06D3217A
	ds_write_b32 v18, v48 offset:17408                         // 000000006F08: D81A4400 00003012
	v_mfma_f32_16x16x16_bf16 v[184:187], v[108:109], v[146:147], v[184:187]// 000000006F10: D3E100B8 06E3256C
	v_subrev_f32_dpp v78, v150, v78 quad_perm:[2,2,2,2] row_mask:0xf bank_mask:0xf// 000000006F18: 069C9CFA FF00AA96
	v_subrev_f32_dpp v79, v150, v79 quad_perm:[3,3,3,3] row_mask:0xf bank_mask:0xf// 000000006F20: 069E9EFA FF00FF96
	v_subrev_f32_dpp v80, v150, v80 quad_perm:[0,0,0,0] row_mask:0xf bank_mask:0xf// 000000006F28: 06A0A0FA FF000096
	v_mfma_f32_16x16x16_bf16 v[188:191], v[110:111], v[146:147], v[188:191]// 000000006F30: D3E100BC 06F3256E
	ds_write_b32 v18, v49 offset:17952                         // 000000006F38: D81A4620 00003112
	v_mfma_f32_16x16x16_bf16 v[192:195], v[112:113], v[146:147], v[192:195]// 000000006F40: D3E100C0 07032570
	v_subrev_f32_dpp v81, v150, v81 quad_perm:[1,1,1,1] row_mask:0xf bank_mask:0xf// 000000006F48: 06A2A2FA FF005596
	v_subrev_f32_dpp v82, v150, v82 quad_perm:[2,2,2,2] row_mask:0xf bank_mask:0xf// 000000006F50: 06A4A4FA FF00AA96
	v_subrev_f32_dpp v83, v150, v83 quad_perm:[3,3,3,3] row_mask:0xf bank_mask:0xf// 000000006F58: 06A6A6FA FF00FF96
	v_mfma_f32_16x16x16_bf16 v[196:199], v[114:115], v[146:147], v[196:199]// 000000006F60: D3E100C4 07132572
	ds_write_b32 v18, v50 offset:19712                         // 000000006F68: D81A4D00 00003212
	v_mfma_f32_16x16x16_bf16 v[200:203], v[116:117], v[146:147], v[200:203]// 000000006F70: D3E100C8 07232574
	v_mul_f32_e32 v78, v54, v78                                // 000000006F78: 0A9C9D36
	v_mul_f32_e32 v79, v55, v79                                // 000000006F7C: 0A9E9F37
	v_mul_f32_e32 v80, v56, v80                                // 000000006F80: 0AA0A138
	v_mfma_f32_16x16x16_bf16 v[204:207], v[118:119], v[146:147], v[204:207]// 000000006F84: D3E100CC 07332576
	v_mul_f32_e32 v81, v57, v81                                // 000000006F8C: 0AA2A339
	v_mul_f32_e32 v82, v58, v82                                // 000000006F90: 0AA4A53A
	v_mul_f32_e32 v83, v59, v83                                // 000000006F94: 0AA6A73B
	v_mfma_f32_16x16x16_bf16 v[208:211], v[120:121], v[146:147], v[208:211]// 000000006F98: D3E100D0 07432578
	v_perm_b32 v75, v79, v78, s64                              // 000000006FA0: D1ED004B 01029D4F
	v_perm_b32 v76, v81, v80, s64                              // 000000006FA8: D1ED004C 0102A151
	v_perm_b32 v77, v83, v82, s64                              // 000000006FB0: D1ED004D 0102A553
	v_mfma_f32_16x16x16_bf16 v[212:215], v[122:123], v[146:147], v[212:215]// 000000006FB8: D3E100D4 0753257A
	v_mov_b32_dpp v16, v75 quad_perm:[1,0,3,2] row_mask:0xf bank_mask:0xf// 000000006FC0: 7E2002FA FF00B14B
	v_perm_b32 v51, v16, v75, v15                              // 000000006FC8: D1ED0033 043E9710
	v_mov_b32_dpp v16, v76 quad_perm:[1,0,3,2] row_mask:0xf bank_mask:0xf// 000000006FD0: 7E2002FA FF00B14C
	v_mfma_f32_16x16x16_bf16 v[216:219], v[108:109], v[148:149], v[216:219]// 000000006FD8: D3E100D8 0763296C
	v_perm_b32 v52, v16, v76, v15                              // 000000006FE0: D1ED0034 043E9910
	v_mov_b32_dpp v16, v77 quad_perm:[1,0,3,2] row_mask:0xf bank_mask:0xf// 000000006FE8: 7E2002FA FF00B14D
	v_perm_b32 v53, v16, v77, v15                              // 000000006FF0: D1ED0035 043E9B10
	v_mfma_f32_16x16x16_bf16 v[220:223], v[110:111], v[148:149], v[220:223]// 000000006FF8: D3E100DC 0773296E
	ds_write_b32 v18, v51 offset:20256                         // 000000007000: D81A4F20 00003312
	v_mfma_f32_16x16x16_bf16 v[224:227], v[112:113], v[148:149], v[224:227]// 000000007008: D3E100E0 07832970
	v_mfma_f32_16x16x16_bf16 v[228:231], v[114:115], v[148:149], v[228:231]// 000000007010: D3E100E4 07932972
	ds_write_b32 v18, v52 offset:22016                         // 000000007018: D81A5600 00003412
	ds_write_b32 v18, v53 offset:22560                         // 000000007020: D81A5820 00003512
	v_mfma_f32_16x16x16_bf16 v[232:235], v[116:117], v[148:149], v[232:235]// 000000007028: D3E100E8 07A32974
	v_mfma_f32_16x16x16_bf16 v[236:239], v[118:119], v[148:149], v[236:239]// 000000007030: D3E100EC 07B32976
	ds_write_b32 v13, v84 offset:4352                          // 000000007038: D81A1100 0000540D
	ds_write_b32 v13, v85 offset:5408                          // 000000007040: D81A1520 0000550D
	v_mfma_f32_16x16x16_bf16 v[240:243], v[120:121], v[148:149], v[240:243]// 000000007048: D3E100F0 07C32978
	s_nop 0                                                    // 000000007050: BF800000
	s_nop 0                                                    // 000000007054: BF800000
	;; [unrolled: 1-line block ×3, first 2 shown]
	v_mfma_f32_16x16x16_bf16 v[244:247], v[122:123], v[148:149], v[244:247]// 00000000705C: D3E100F4 07D3297A
	ds_write_b32 v13, v86 offset:4480                          // 000000007064: D81A1180 0000560D
	ds_write_b32 v13, v87 offset:5536                          // 00000000706C: D81A15A0 0000570D
	s_barrier                                                  // 000000007074: BF8A0000
	v_mfma_f32_16x16x16_bf16 a[160:163], a[144:145], v[72:73], a[160:163]// 000000007078: D3E180A0 0E829190
	buffer_atomic_add_f32 v136, v7, s[32:35], 0 offen          // 000000007080: E1341000 80088807
	v_mfma_f32_16x16x16_bf16 a[164:167], a[146:147], v[72:73], a[164:167]// 000000007088: D3E180A4 0E929192
	ds_read_b32 v124, v21 offset:50688                         // 000000007090: D86CC600 7C000015
	ds_read_b32 v150, v21 offset:50944                         // 000000007098: D86CC700 96000015
	v_mfma_f32_16x16x16_bf16 a[168:171], a[148:149], v[72:73], a[168:171]// 0000000070A0: D3E180A8 0EA29194
	s_waitcnt lgkmcnt(6)                                       // 0000000070A8: BF8CC67F
	s_barrier                                                  // 0000000070AC: BF8A0000
	v_mfma_f32_16x16x16_bf16 a[172:175], a[150:151], v[72:73], a[172:175]// 0000000070B0: D3E180AC 0EB29196
	ds_read_b128 v[48:51], v17 offset:17408                    // 0000000070B8: D9FE4400 30000011
	v_mfma_f32_16x16x16_bf16 a[176:179], a[152:153], v[72:73], a[176:179]// 0000000070C0: D3E180B0 0EC29198
	v_mfma_f32_16x16x16_bf16 a[180:183], a[154:155], v[72:73], a[180:183]// 0000000070C8: D3E180B4 0ED2919A
	ds_read_b128 v[52:55], v17 offset:18560                    // 0000000070D0: D9FE4880 34000011
	v_mfma_f32_16x16x16_bf16 a[184:187], a[156:157], v[72:73], a[184:187]// 0000000070D8: D3E180B8 0EE2919C
	buffer_atomic_add_f32 v137, v8, s[32:35], 0 offen          // 0000000070E0: E1341000 80088908
	v_mfma_f32_16x16x16_bf16 a[188:191], a[158:159], v[72:73], a[188:191]// 0000000070E8: D3E180BC 0EF2919E
	ds_read_b128 v[56:59], v17 offset:19712                    // 0000000070F0: D9FE4D00 38000011
	v_mfma_f32_16x16x16_bf16 a[192:195], a[144:145], v[74:75], a[192:195]// 0000000070F8: D3E180C0 0F029590
	v_mfma_f32_16x16x16_bf16 a[196:199], a[146:147], v[74:75], a[196:199]// 000000007100: D3E180C4 0F129592
	ds_read_b128 v[60:63], v17 offset:20864                    // 000000007108: D9FE5180 3C000011
	v_mfma_f32_16x16x16_bf16 a[200:203], a[148:149], v[74:75], a[200:203]// 000000007110: D3E180C8 0F229594
	v_mfma_f32_16x16x16_bf16 a[204:207], a[150:151], v[74:75], a[204:207]// 000000007118: D3E180CC 0F329596
	ds_read_b128 v[64:67], v17 offset:22016                    // 000000007120: D9FE5600 40000011
	v_mfma_f32_16x16x16_bf16 a[208:211], a[152:153], v[74:75], a[208:211]// 000000007128: D3E180D0 0F429598
	buffer_atomic_add_f32 v138, v7, s[32:35], 0 offen offset:128// 000000007130: E1341080 80088A07
	v_mfma_f32_16x16x16_bf16 a[212:215], a[154:155], v[74:75], a[212:215]// 000000007138: D3E180D4 0F52959A
	ds_read_b128 v[68:71], v17 offset:23168                    // 000000007140: D9FE5A80 44000011
	v_mfma_f32_16x16x16_bf16 a[216:219], a[156:157], v[74:75], a[216:219]// 000000007148: D3E180D8 0F62959C
	v_mfma_f32_16x16x16_bf16 a[220:223], a[158:159], v[74:75], a[220:223]// 000000007150: D3E180DC 0F72959E
	ds_write_b32 v13, v88 offset:13056                         // 000000007158: D81A3300 0000580D
	v_mfma_f32_16x16x16_bf16 a[224:227], a[144:145], v[76:77], a[224:227]// 000000007160: D3E180E0 0F829990
	v_mfma_f32_16x16x16_bf16 a[228:231], a[146:147], v[76:77], a[228:231]// 000000007168: D3E180E4 0F929992
	ds_write_b32 v13, v89 offset:14112                         // 000000007170: D81A3720 0000590D
	v_mfma_f32_16x16x16_bf16 a[232:235], a[148:149], v[76:77], a[232:235]// 000000007178: D3E180E8 0FA29994
	buffer_atomic_add_f32 v139, v8, s[32:35], 0 offen offset:128// 000000007180: E1341080 80088B08
	v_mfma_f32_16x16x16_bf16 a[236:239], a[150:151], v[76:77], a[236:239]// 000000007188: D3E180EC 0FB29996
	ds_write_b32 v13, v90 offset:13184                         // 000000007190: D81A3380 00005A0D
	v_mfma_f32_16x16x16_bf16 a[240:243], a[152:153], v[76:77], a[240:243]// 000000007198: D3E180F0 0FC29998
	v_mfma_f32_16x16x16_bf16 a[244:247], a[154:155], v[76:77], a[244:247]// 0000000071A0: D3E180F4 0FD2999A
	ds_write_b32 v13, v91 offset:14240                         // 0000000071A8: D81A37A0 00005B0D
	v_mfma_f32_16x16x16_bf16 a[248:251], a[156:157], v[76:77], a[248:251]// 0000000071B0: D3E180F8 0FE2999C
	v_mfma_f32_16x16x16_bf16 a[252:255], a[158:159], v[76:77], a[252:255]// 0000000071B8: D3E180FC 0FF2999E
	s_waitcnt vmcnt(8) lgkmcnt(4)                              // 0000000071C0: BF8C0478
	s_barrier                                                  // 0000000071C4: BF8A0000
	v_mfma_f32_16x16x16_bf16 v[128:131], v[48:49], a[48:49], 0 // 0000000071C8: D3E10080 12026130
	v_mul_f32_e32 v124, s48, v124                              // 0000000071D0: 0AF8F830
	s_nop 0                                                    // 0000000071D4: BF800000
	v_mfma_f32_16x16x16_bf16 v[128:131], v[50:51], a[52:53], v[128:131]// 0000000071D8: D3E10080 16026932
	ds_read_b128 a[144:147], v10                               // 0000000071E0: DBFE0000 9000000A
	buffer_load_dword v32, v1, s[8:11], 0 idxen                // 0000000071E8: E0502000 80022001
	v_mfma_f32_16x16x16_bf16 v[128:131], v[52:53], a[56:57], v[128:131]// 0000000071F0: D3E10080 16027134
	v_mfma_f32_16x16x16_bf16 v[128:131], v[54:55], a[60:61], v[128:131]// 0000000071F8: D3E10080 16027936
	ds_read_b128 a[148:151], v10 offset:512                    // 000000007200: DBFE0200 9400000A
	buffer_load_dword v33, v2, s[8:11], 0 idxen                // 000000007208: E0502000 80022102
	v_mfma_f32_16x16x16_bf16 v[128:131], v[56:57], a[64:65], v[128:131]// 000000007210: D3E10080 16028138
	v_perm_b32 v84, v37, v36, s63                              // 000000007218: D1ED0054 00FE4925
	v_perm_b32 v85, v37, v36, s64                              // 000000007220: D1ED0055 01024925
	v_mfma_f32_16x16x16_bf16 v[128:131], v[58:59], a[68:69], v[128:131]// 000000007228: D3E10080 1602893A
	ds_read_b128 a[152:155], v10 offset:2176                   // 000000007230: DBFE0880 9800000A
	buffer_load_dword v34, v3, s[8:11], 0 idxen                // 000000007238: E0502000 80022203
	v_mfma_f32_16x16x16_bf16 v[128:131], v[60:61], a[72:73], v[128:131]// 000000007240: D3E10080 1602913C
	v_perm_b32 v86, v39, v38, s63                              // 000000007248: D1ED0056 00FE4D27
	v_perm_b32 v87, v39, v38, s64                              // 000000007250: D1ED0057 01024D27
	v_mfma_f32_16x16x16_bf16 v[128:131], v[62:63], a[76:77], v[128:131]// 000000007258: D3E10080 1602993E
	ds_read_b128 a[156:159], v10 offset:2688                   // 000000007260: DBFE0A80 9C00000A
	buffer_load_dword v35, v4, s[8:11], 0 idxen                // 000000007268: E0502000 80022304
	v_mfma_f32_16x16x16_bf16 v[128:131], v[64:65], a[80:81], v[128:131]// 000000007270: D3E10080 1602A140
	v_perm_b32 v88, v45, v44, s63                              // 000000007278: D1ED0058 00FE592D
	v_perm_b32 v89, v45, v44, s64                              // 000000007280: D1ED0059 0102592D
	v_mfma_f32_16x16x16_bf16 v[128:131], v[66:67], a[84:85], v[128:131]// 000000007288: D3E10080 1602A942
	ds_read_b128 v[92:95], v10 offset:8704                     // 000000007290: D9FE2200 5C00000A
	buffer_load_dword v40, v252, s[20:23], 0 idxen             // 000000007298: E0502000 800528FC
	v_mfma_f32_16x16x16_bf16 v[128:131], v[68:69], a[88:89], v[128:131]// 0000000072A0: D3E10080 1602B144
	v_perm_b32 v90, v47, v46, s63                              // 0000000072A8: D1ED005A 00FE5D2F
	v_perm_b32 v91, v47, v46, s64                              // 0000000072B0: D1ED005B 01025D2F
	v_mfma_f32_16x16x16_bf16 v[128:131], v[70:71], a[92:93], v[128:131]// 0000000072B8: D3E10080 1602B946
	ds_read_b128 v[96:99], v10 offset:9216                     // 0000000072C0: D9FE2400 6000000A
	buffer_load_dword v41, v253, s[20:23], 0 idxen             // 0000000072C8: E0502000 800529FD
	v_mfma_f32_16x16x16_bf16 v[132:135], v[48:49], a[50:51], 0 // 0000000072D0: D3E10084 12026530
	v_mov_b32_dpp v127, v124 quad_perm:[3,3,3,3] row_mask:0xf bank_mask:0xf// 0000000072D8: 7EFE02FA FF00FF7C
	v_mov_b32_dpp v126, v124 quad_perm:[2,2,2,2] row_mask:0xf bank_mask:0xf// 0000000072E0: 7EFC02FA FF00AA7C
	v_mfma_f32_16x16x16_bf16 v[132:135], v[50:51], a[54:55], v[132:135]// 0000000072E8: D3E10084 16126D32
	ds_read_b128 v[100:103], v10 offset:10880                  // 0000000072F0: D9FE2A80 6400000A
	buffer_load_dword v42, v254, s[20:23], 0 idxen             // 0000000072F8: E0502000 80052AFE
	v_mfma_f32_16x16x16_bf16 v[132:135], v[52:53], a[58:59], v[132:135]// 000000007300: D3E10084 16127534
	v_mov_b32_dpp v125, v124 quad_perm:[1,1,1,1] row_mask:0xf bank_mask:0xf// 000000007308: 7EFA02FA FF00557C
	v_mov_b32_dpp v124, v124 quad_perm:[0,0,0,0] row_mask:0xf bank_mask:0xf// 000000007310: 7EF802FA FF00007C
	s_add_u32 s60, 64, s59                                     // 000000007318: 803C3BC0
	v_mfma_f32_16x16x16_bf16 v[132:135], v[54:55], a[62:63], v[132:135]// 00000000731C: D3E10084 16127D36
	ds_read_b128 v[104:107], v10 offset:11392                  // 000000007324: D9FE2C80 6800000A
	buffer_load_dword v43, v255, s[20:23], 0 idxen             // 00000000732C: E0502000 80052BFF
	v_mfma_f32_16x16x16_bf16 v[132:135], v[56:57], a[66:67], v[132:135]// 000000007334: D3E10084 16128538
	s_cmp_lt_u32 s60, s58                                      // 00000000733C: BF0A3A3C
	s_cselect_b32 s68, s68, 0                                  // 000000007340: 85448044
	s_cselect_b32 s101, s101, 0                                // 000000007344: 85658065
	s_cselect_b32 s69, s69, 0                                  // 000000007348: 85458045
	v_mfma_f32_16x16x16_bf16 v[132:135], v[58:59], a[70:71], v[132:135]// 00000000734C: D3E10084 16128D3A
	buffer_load_dword v9, s[24:27], 0 idxen lds                // 000000007354: E0512000 80060009
	v_mfma_f32_16x16x16_bf16 v[132:135], v[60:61], a[74:75], v[132:135]// 00000000735C: D3E10084 1612953C
	v_add_u32_e32 v1, s68, v1                                  // 000000007364: 68020244
	v_add_u32_e32 v2, s68, v2                                  // 000000007368: 68040444
	v_add_u32_e32 v3, s68, v3                                  // 00000000736C: 68060644
	v_add_u32_e32 v4, s68, v4                                  // 000000007370: 68080844
	v_mfma_f32_16x16x16_bf16 v[132:135], v[62:63], a[78:79], v[132:135]// 000000007374: D3E10084 16129D3E
	v_add_u32_e32 v252, s101, v252                             // 00000000737C: 69F9F865
	v_add_u32_e32 v253, s101, v253                             // 000000007380: 69FBFA65
	v_add_u32_e32 v254, s101, v254                             // 000000007384: 69FDFC65
	v_add_u32_e32 v255, s101, v255                             // 000000007388: 69FFFE65
	v_mfma_f32_16x16x16_bf16 v[132:135], v[64:65], a[82:83], v[132:135]// 00000000738C: D3E10084 1612A540
	s_mov_b32 m0, s77                                          // 000000007394: BEFC004D
	v_add_u32_e32 v9, s69, v9                                  // 000000007398: 68121245
	v_mfma_f32_16x16x16_bf16 v[132:135], v[66:67], a[86:87], v[132:135]// 00000000739C: D3E10084 1612AD42
	s_cmp_ge_u32 s59, 16                                       // 0000000073A4: BF09903B
	s_cselect_b32 s66, s67, s66                                // 0000000073A8: 85424243
	v_mfma_f32_16x16x16_bf16 v[132:135], v[68:69], a[90:91], v[132:135]// 0000000073AC: D3E10084 1612B544
	s_addk_i32 s59, 0x10                                       // 0000000073B4: B73B0010
	s_nop 0                                                    // 0000000073B8: BF800000
	s_cmp_lt_i32 s59, s58                                      // 0000000073BC: BF043A3B
	v_mfma_f32_16x16x16_bf16 v[132:135], v[70:71], a[94:95], v[132:135]// 0000000073C0: D3E10084 1612BD46
	s_cbranch_scc0 label_0D7E                                  // 0000000073C8: BF840001
	s_branch label_0859                                        // 0000000073CC: BF82FAE5

00000000000073d0 <label_0D7E>:
	s_nop 0                                                    // 0000000073D0: BF800000
	s_nop 0                                                    // 0000000073D4: BF800000
	s_branch label_12A6                                        // 0000000073D8: BF82051B

00000000000073dc <label_0D81>:
	s_waitcnt lgkmcnt(0)                                       // 0000000073DC: BF8CC07F
	s_barrier                                                  // 0000000073E0: BF8A0000
	v_mfma_f32_16x16x16_bf16 v[48:51], a[144:145], a[0:1], 0   // 0000000073E4: D3E10030 1A020190
	v_mul_f32_e32 v128, s47, v128                              // 0000000073EC: 0B01002F
	v_mul_f32_e32 v129, s47, v129                              // 0000000073F0: 0B03022F
	v_mfma_f32_16x16x16_bf16 v[48:51], a[146:147], a[2:3], v[48:51]// 0000000073F4: D3E10030 1CC20592
	ds_write_b32 v11, v44 offset:8704                          // 0000000073FC: D81A2200 00002C0B
	ds_write_b32 v11, v45 offset:9760                          // 000000007404: D81A2620 00002D0B
	v_mfma_f32_16x16x16_bf16 v[48:51], a[148:149], a[4:5], v[48:51]// 00000000740C: D3E10030 1CC20994
	v_mul_f32_e32 v130, s47, v130                              // 000000007414: 0B05042F
	v_mul_f32_e32 v131, s47, v131                              // 000000007418: 0B07062F
	v_mfma_f32_16x16x16_bf16 v[48:51], a[150:151], a[6:7], v[48:51]// 00000000741C: D3E10030 1CC20D96
	ds_write_b32 v11, v46 offset:8832                          // 000000007424: D81A2280 00002E0B
	ds_write_b32 v11, v47 offset:9888                          // 00000000742C: D81A26A0 00002F0B
	v_mfma_f32_16x16x16_bf16 v[48:51], a[152:153], a[8:9], v[48:51]// 000000007434: D3E10030 1CC21198
	v_mul_f32_e32 v132, s47, v132                              // 00000000743C: 0B09082F
	v_mul_f32_e32 v133, s47, v133                              // 000000007440: 0B0B0A2F
	v_mfma_f32_16x16x16_bf16 v[48:51], a[154:155], a[10:11], v[48:51]// 000000007444: D3E10030 1CC2159A
	ds_write_b64 v20, v[128:129] offset:24320                  // 00000000744C: D89A5F00 00008014
	v_mfma_f32_16x16x16_bf16 v[48:51], a[156:157], a[12:13], v[48:51]// 000000007454: D3E10030 1CC2199C
	v_mul_f32_e32 v134, s47, v134                              // 00000000745C: 0B0D0C2F
	v_mul_f32_e32 v135, s47, v135                              // 000000007460: 0B0F0E2F
	v_mfma_f32_16x16x16_bf16 v[48:51], a[158:159], a[14:15], v[48:51]// 000000007464: D3E10030 1CC21D9E
	ds_write_b64 v20, v[130:131] offset:24832                  // 00000000746C: D89A6100 00008214
	v_mfma_f32_16x16x16_bf16 v[52:55], a[144:145], a[16:17], 0 // 000000007474: D3E10034 1A022190
	buffer_atomic_add_f32 v140, v7, s[32:35], 0 offen offset:256// 00000000747C: E1341100 80088C07
	v_mfma_f32_16x16x16_bf16 v[52:55], a[146:147], a[18:19], v[52:55]// 000000007484: D3E10034 1CD22592
	ds_write_b64 v20, v[132:133] offset:25344                  // 00000000748C: D89A6300 00008414
	v_mfma_f32_16x16x16_bf16 v[52:55], a[148:149], a[20:21], v[52:55]// 000000007494: D3E10034 1CD22994
	v_mfma_f32_16x16x16_bf16 v[52:55], a[150:151], a[22:23], v[52:55]// 00000000749C: D3E10034 1CD22D96
	ds_write_b64 v20, v[134:135] offset:25856                  // 0000000074A4: D89A6500 00008614
	v_mfma_f32_16x16x16_bf16 v[52:55], a[152:153], a[24:25], v[52:55]// 0000000074AC: D3E10034 1CD23198
	buffer_atomic_add_f32 v141, v8, s[32:35], 0 offen offset:256// 0000000074B4: E1341100 80088D08
	v_mfma_f32_16x16x16_bf16 v[52:55], a[154:155], a[26:27], v[52:55]// 0000000074BC: D3E10034 1CD2359A
	ds_read_b128 v[108:111], v12 offset:13056                  // 0000000074C4: D9FE3300 6C00000C
	ds_write_b32 v11, v36                                      // 0000000074CC: D81A0000 0000240B
	v_mfma_f32_16x16x16_bf16 v[52:55], a[156:157], a[28:29], v[52:55]// 0000000074D4: D3E10034 1CD2399C
	v_mfma_f32_16x16x16_bf16 v[52:55], a[158:159], a[30:31], v[52:55]// 0000000074DC: D3E10034 1CD23D9E
	v_mfma_f32_16x16x16_bf16 v[56:59], a[144:145], a[32:33], 0 // 0000000074E4: D3E10038 1A024190
	ds_read_b128 v[112:115], v12 offset:13568                  // 0000000074EC: D9FE3500 7000000C
	ds_write_b32 v11, v37 offset:1056                          // 0000000074F4: D81A0420 0000250B
	v_mfma_f32_16x16x16_bf16 v[56:59], a[146:147], a[34:35], v[56:59]// 0000000074FC: D3E10038 1CE24592
	buffer_atomic_add_f32 v142, v7, s[32:35], 0 offen offset:384// 000000007504: E1341180 80088E07
	v_mfma_f32_16x16x16_bf16 v[56:59], a[148:149], a[36:37], v[56:59]// 00000000750C: D3E10038 1CE24994
	v_mfma_f32_16x16x16_bf16 v[56:59], a[150:151], a[38:39], v[56:59]// 000000007514: D3E10038 1CE24D96
	ds_read_b128 v[116:119], v12 offset:15232                  // 00000000751C: D9FE3B80 7400000C
	ds_write_b32 v11, v38 offset:128                           // 000000007524: D81A0080 0000260B
	v_mfma_f32_16x16x16_bf16 v[56:59], a[152:153], a[40:41], v[56:59]// 00000000752C: D3E10038 1CE25198
	v_mfma_f32_16x16x16_bf16 v[56:59], a[154:155], a[42:43], v[56:59]// 000000007534: D3E10038 1CE2559A
	buffer_atomic_add_f32 v143, v8, s[32:35], 0 offen offset:384// 00000000753C: E1341180 80088F08
	v_mfma_f32_16x16x16_bf16 v[56:59], a[156:157], a[44:45], v[56:59]// 000000007544: D3E10038 1CE2599C
	ds_read_b128 v[120:123], v12 offset:15744                  // 00000000754C: D9FE3D80 7800000C
	ds_write_b32 v11, v39 offset:1184                          // 000000007554: D81A04A0 0000270B
	v_mfma_f32_16x16x16_bf16 v[56:59], a[158:159], a[46:47], v[56:59]// 00000000755C: D3E10038 1CE25D9E
	s_cmp_lt_i32 s81, 0xc0                                     // 000000007564: BF04FF51 000000C0
	s_cbranch_scc0 label_0E38                                  // 00000000756C: BF84004D
	s_cmp_le_i32 s81, 64                                       // 000000007570: BF05C051
	s_cbranch_scc1 label_0DEF                                  // 000000007574: BF850007
	s_cmp_le_i32 s81, 0x80                                     // 000000007578: BF05FF51 00000080
	s_cbranch_scc1 label_0E07                                  // 000000007580: BF850017
	s_cmp_lt_i32 s81, 0xc0                                     // 000000007584: BF04FF51 000000C0
	s_cbranch_scc1 label_0E1F                                  // 00000000758C: BF85002C
	s_branch label_0E38                                        // 000000007590: BF820044

0000000000007594 <label_0DEF>:
	s_mov_b32 s60, 0                                           // 000000007594: BEBC0080
	v_and_b32_e32 v28, 15, v0                                  // 000000007598: 2638008F
	v_add_u32_e64 v28, v28, s60                                // 00000000759C: D134001C 0000791C
	v_mul_i32_i24_e64 v29, s46, 16                             // 0000000075A4: D106001D 0001202E
	v_add_u32_e32 v28, v28, v29                                // 0000000075AC: 68383B1C
	v_cmp_lt_u32_e64 s[60:61], v28, s81                        // 0000000075B0: D0C9003C 0000A31C
	s_nop 1                                                    // 0000000075B8: BF800001
	v_cndmask_b32_e64 v48, v151, v48, s[60:61]                 // 0000000075BC: D1000030 00F26197
	v_cndmask_b32_e64 v49, v151, v49, s[60:61]                 // 0000000075C4: D1000031 00F26397
	v_cndmask_b32_e64 v50, v151, v50, s[60:61]                 // 0000000075CC: D1000032 00F26597
	v_cndmask_b32_e64 v51, v151, v51, s[60:61]                 // 0000000075D4: D1000033 00F26797
	s_branch label_0E1A                                        // 0000000075DC: BF820013

00000000000075e0 <label_0E07>:
	s_mov_b32 s60, 64                                          // 0000000075E0: BEBC00C0
	v_and_b32_e32 v28, 15, v0                                  // 0000000075E4: 2638008F
	v_add_u32_e64 v28, v28, s60                                // 0000000075E8: D134001C 0000791C
	v_mul_i32_i24_e64 v29, s46, 16                             // 0000000075F0: D106001D 0001202E
	v_add_u32_e32 v28, v28, v29                                // 0000000075F8: 68383B1C
	v_cmp_lt_u32_e64 s[60:61], v28, s81                        // 0000000075FC: D0C9003C 0000A31C
	s_nop 1                                                    // 000000007604: BF800001
	v_cndmask_b32_e64 v52, v151, v52, s[60:61]                 // 000000007608: D1000034 00F26997
	v_cndmask_b32_e64 v53, v151, v53, s[60:61]                 // 000000007610: D1000035 00F26B97
	v_cndmask_b32_e64 v54, v151, v54, s[60:61]                 // 000000007618: D1000036 00F26D97
	v_cndmask_b32_e64 v55, v151, v55, s[60:61]                 // 000000007620: D1000037 00F26F97
	s_branch label_0E33                                        // 000000007628: BF820019

000000000000762c <label_0E1A>:
	v_mov_b32_e32 v52, v151                                    // 00000000762C: 7E680397
	v_mov_b32_e32 v53, v151                                    // 000000007630: 7E6A0397
	v_mov_b32_e32 v54, v151                                    // 000000007634: 7E6C0397
	v_mov_b32_e32 v55, v151                                    // 000000007638: 7E6E0397
	s_branch label_0E33                                        // 00000000763C: BF820014

0000000000007640 <label_0E1F>:
	s_mov_b32 s60, 0x80                                        // 000000007640: BEBC00FF 00000080
	v_and_b32_e32 v28, 15, v0                                  // 000000007648: 2638008F
	v_add_u32_e64 v28, v28, s60                                // 00000000764C: D134001C 0000791C
	v_mul_i32_i24_e64 v29, s46, 16                             // 000000007654: D106001D 0001202E
	v_add_u32_e32 v28, v28, v29                                // 00000000765C: 68383B1C
	v_cmp_lt_u32_e64 s[60:61], v28, s81                        // 000000007660: D0C9003C 0000A31C
	s_nop 1                                                    // 000000007668: BF800001
	v_cndmask_b32_e64 v56, v151, v56, s[60:61]                 // 00000000766C: D1000038 00F27197
	v_cndmask_b32_e64 v57, v151, v57, s[60:61]                 // 000000007674: D1000039 00F27397
	v_cndmask_b32_e64 v58, v151, v58, s[60:61]                 // 00000000767C: D100003A 00F27597
	v_cndmask_b32_e64 v59, v151, v59, s[60:61]                 // 000000007684: D100003B 00F27797
	s_branch label_0E38                                        // 00000000768C: BF820005

0000000000007690 <label_0E33>:
	v_mov_b32_e32 v56, v151                                    // 000000007690: 7E700397
	v_mov_b32_e32 v57, v151                                    // 000000007694: 7E720397
	v_mov_b32_e32 v58, v151                                    // 000000007698: 7E740397
	v_mov_b32_e32 v59, v151                                    // 00000000769C: 7E760397
	s_branch label_0E38                                        // 0000000076A0: BF820000

00000000000076a4 <label_0E38>:
	s_waitcnt lgkmcnt(8)                                       // 0000000076A4: BF8CC87F
	s_barrier                                                  // 0000000076A8: BF8A0000
	v_mfma_f32_16x16x16_bf16 v[72:75], v[92:93], a[96:97], 0   // 0000000076AC: D3E10048 1202C15C
	v_fma_f32 v48, v48, s57, -v124                             // 0000000076B4: D1CB0030 85F07330
	v_fma_f32 v49, v49, s57, -v125                             // 0000000076BC: D1CB0031 85F47331
	v_fma_f32 v50, v50, s57, -v126                             // 0000000076C4: D1CB0032 85F87332
	v_mfma_f32_16x16x16_bf16 v[72:75], v[94:95], a[98:99], v[72:75]// 0000000076CC: D3E10048 1522C55E
	ds_read_b128 a[144:147], v12 offset:4352                   // 0000000076D4: DBFE1100 9000000C
	ds_read_b128 a[148:151], v12 offset:4864                   // 0000000076DC: DBFE1300 9400000C
	v_mfma_f32_16x16x16_bf16 v[72:75], v[96:97], a[100:101], v[72:75]// 0000000076E4: D3E10048 1522C960
	v_fma_f32 v51, v51, s57, -v127                             // 0000000076EC: D1CB0033 85FC7333
	v_fma_f32 v52, v52, s57, -v124                             // 0000000076F4: D1CB0034 85F07334
	v_fma_f32 v53, v53, s57, -v125                             // 0000000076FC: D1CB0035 85F47335
	v_mfma_f32_16x16x16_bf16 v[72:75], v[98:99], a[102:103], v[72:75]// 000000007704: D3E10048 1522CD62
	v_fma_f32 v54, v54, s57, -v126                             // 00000000770C: D1CB0036 85F87336
	v_fma_f32 v55, v55, s57, -v127                             // 000000007714: D1CB0037 85FC7337
	v_fma_f32 v56, v56, s57, -v124                             // 00000000771C: D1CB0038 85F07338
	v_mfma_f32_16x16x16_bf16 v[72:75], v[100:101], a[104:105], v[72:75]// 000000007724: D3E10048 1522D164
	v_fma_f32 v57, v57, s57, -v125                             // 00000000772C: D1CB0039 85F47339
	v_fma_f32 v58, v58, s57, -v126                             // 000000007734: D1CB003A 85F8733A
	v_fma_f32 v59, v59, s57, -v127                             // 00000000773C: D1CB003B 85FC733B
	v_mfma_f32_16x16x16_bf16 v[72:75], v[102:103], a[106:107], v[72:75]// 000000007744: D3E10048 1522D566
	ds_read_b128 a[152:155], v12 offset:6528                   // 00000000774C: DBFE1980 9800000C
	ds_read_b128 a[156:159], v12 offset:7040                   // 000000007754: DBFE1B80 9C00000C
	v_mfma_f32_16x16x16_bf16 v[72:75], v[104:105], a[108:109], v[72:75]// 00000000775C: D3E10048 1522D968
	v_exp_f32_e32 v48, v48                                     // 000000007764: 7E604130
	v_mfma_f32_16x16x16_bf16 v[72:75], v[106:107], a[110:111], v[72:75]// 000000007768: D3E10048 1522DD6A
	v_exp_f32_e32 v49, v49                                     // 000000007770: 7E624131
	v_mfma_f32_16x16x16_bf16 v[76:79], v[92:93], a[112:113], 0 // 000000007774: D3E1004C 1202E15C
	v_exp_f32_e32 v50, v50                                     // 00000000777C: 7E644132
	v_mfma_f32_16x16x16_bf16 v[76:79], v[94:95], a[114:115], v[76:79]// 000000007780: D3E1004C 1532E55E
	ds_read_b64 v[136:137], v19 offset:24320                   // 000000007788: D8EC5F00 88000013
	ds_read_b64 v[138:139], v19 offset:26368                   // 000000007790: D8EC6700 8A000013
	v_mfma_f32_16x16x16_bf16 v[76:79], v[96:97], a[116:117], v[76:79]// 000000007798: D3E1004C 1532E960
	v_exp_f32_e32 v51, v51                                     // 0000000077A0: 7E664133
	v_mfma_f32_16x16x16_bf16 v[76:79], v[98:99], a[118:119], v[76:79]// 0000000077A4: D3E1004C 1532ED62
	ds_read_b64 v[140:141], v19 offset:28416                   // 0000000077AC: D8EC6F00 8C000013
	ds_read_b64 v[142:143], v19 offset:30464                   // 0000000077B4: D8EC7700 8E000013
	v_mfma_f32_16x16x16_bf16 v[76:79], v[100:101], a[120:121], v[76:79]// 0000000077BC: D3E1004C 1532F164
	v_exp_f32_e32 v52, v52                                     // 0000000077C4: 7E684134
	v_mfma_f32_16x16x16_bf16 v[76:79], v[102:103], a[122:123], v[76:79]// 0000000077C8: D3E1004C 1532F566
	v_exp_f32_e32 v53, v53                                     // 0000000077D0: 7E6A4135
	v_mfma_f32_16x16x16_bf16 v[76:79], v[104:105], a[124:125], v[76:79]// 0000000077D4: D3E1004C 1532F968
	v_exp_f32_e32 v54, v54                                     // 0000000077DC: 7E6C4136
	v_mfma_f32_16x16x16_bf16 v[76:79], v[106:107], a[126:127], v[76:79]// 0000000077E0: D3E1004C 1532FD6A
	v_exp_f32_e32 v55, v55                                     // 0000000077E8: 7E6E4137
	v_mfma_f32_16x16x16_bf16 v[80:83], v[92:93], a[128:129], 0 // 0000000077EC: D3E10050 1203015C
	v_exp_f32_e32 v56, v56                                     // 0000000077F4: 7E704138
	v_mfma_f32_16x16x16_bf16 v[80:83], v[94:95], a[130:131], v[80:83]// 0000000077F8: D3E10050 1543055E
	v_exp_f32_e32 v57, v57                                     // 000000007800: 7E724139
	v_mfma_f32_16x16x16_bf16 v[80:83], v[96:97], a[132:133], v[80:83]// 000000007804: D3E10050 15430960
	v_exp_f32_e32 v58, v58                                     // 00000000780C: 7E74413A
	v_mfma_f32_16x16x16_bf16 v[80:83], v[98:99], a[134:135], v[80:83]// 000000007810: D3E10050 15430D62
	v_exp_f32_e32 v59, v59                                     // 000000007818: 7E76413B
	v_mfma_f32_16x16x16_bf16 v[80:83], v[100:101], a[136:137], v[80:83]// 00000000781C: D3E10050 15431164
	v_perm_b32 v144, v49, v48, s64                             // 000000007824: D1ED0090 01026131
	v_perm_b32 v145, v51, v50, s64                             // 00000000782C: D1ED0091 01026533
	v_perm_b32 v146, v53, v52, s64                             // 000000007834: D1ED0092 01026935
	v_mfma_f32_16x16x16_bf16 v[80:83], v[102:103], a[138:139], v[80:83]// 00000000783C: D3E10050 15431566
	v_perm_b32 v147, v55, v54, s64                             // 000000007844: D1ED0093 01026D37
	v_perm_b32 v148, v57, v56, s64                             // 00000000784C: D1ED0094 01027139
	v_perm_b32 v149, v59, v58, s64                             // 000000007854: D1ED0095 0102753B
	v_mfma_f32_16x16x16_bf16 v[80:83], v[104:105], a[140:141], v[80:83]// 00000000785C: D3E10050 15431968
	v_add_u32_e32 v7, s66, v7                                  // 000000007864: 680E0E42
	v_add_u32_e32 v8, s66, v8                                  // 000000007868: 68101042
	v_mfma_f32_16x16x16_bf16 v[80:83], v[106:107], a[142:143], v[80:83]// 00000000786C: D3E10050 15431D6A
	s_waitcnt lgkmcnt(0)                                       // 000000007874: BF8CC07F
	s_barrier                                                  // 000000007878: BF8A0000
	v_mfma_f32_16x16x16_bf16 v[152:155], v[108:109], v[144:145], v[152:155]// 00000000787C: D3E10098 0663216C
	v_subrev_f32_dpp v72, v150, v72 quad_perm:[0,0,0,0] row_mask:0xf bank_mask:0xf// 000000007884: 069090FA FF000096
	v_subrev_f32_dpp v73, v150, v73 quad_perm:[1,1,1,1] row_mask:0xf bank_mask:0xf// 00000000788C: 069292FA FF005596
	v_subrev_f32_dpp v74, v150, v74 quad_perm:[2,2,2,2] row_mask:0xf bank_mask:0xf// 000000007894: 069494FA FF00AA96
	v_mfma_f32_16x16x16_bf16 v[156:159], v[110:111], v[144:145], v[156:159]// 00000000789C: D3E1009C 0673216E
	v_subrev_f32_dpp v75, v150, v75 quad_perm:[3,3,3,3] row_mask:0xf bank_mask:0xf// 0000000078A4: 069696FA FF00FF96
	v_subrev_f32_dpp v76, v150, v76 quad_perm:[0,0,0,0] row_mask:0xf bank_mask:0xf// 0000000078AC: 069898FA FF000096
	v_subrev_f32_dpp v77, v150, v77 quad_perm:[1,1,1,1] row_mask:0xf bank_mask:0xf// 0000000078B4: 069A9AFA FF005596
	v_mfma_f32_16x16x16_bf16 v[160:163], v[112:113], v[144:145], v[160:163]// 0000000078BC: D3E100A0 06832170
	v_mul_f32_e32 v72, v48, v72                                // 0000000078C4: 0A909130
	v_mul_f32_e32 v73, v49, v73                                // 0000000078C8: 0A929331
	v_mul_f32_e32 v74, v50, v74                                // 0000000078CC: 0A949532
	v_mfma_f32_16x16x16_bf16 v[164:167], v[114:115], v[144:145], v[164:167]// 0000000078D0: D3E100A4 06932172
	v_mul_f32_e32 v75, v51, v75                                // 0000000078D8: 0A969733
	v_mul_f32_e32 v76, v52, v76                                // 0000000078DC: 0A989934
	v_mul_f32_e32 v77, v53, v77                                // 0000000078E0: 0A9A9B35
	v_mfma_f32_16x16x16_bf16 v[168:171], v[116:117], v[144:145], v[168:171]// 0000000078E4: D3E100A8 06A32174
	v_perm_b32 v72, v73, v72, s64                              // 0000000078EC: D1ED0048 01029149
	v_perm_b32 v73, v75, v74, s64                              // 0000000078F4: D1ED0049 0102954B
	v_perm_b32 v74, v77, v76, s64                              // 0000000078FC: D1ED004A 0102994D
	v_mfma_f32_16x16x16_bf16 v[172:175], v[118:119], v[144:145], v[172:175]// 000000007904: D3E100AC 06B32176
	v_mov_b32_dpp v16, v72 quad_perm:[1,0,3,2] row_mask:0xf bank_mask:0xf// 00000000790C: 7E2002FA FF00B148
	v_perm_b32 v48, v16, v72, v15                              // 000000007914: D1ED0030 043E9110
	v_mov_b32_dpp v16, v73 quad_perm:[1,0,3,2] row_mask:0xf bank_mask:0xf// 00000000791C: 7E2002FA FF00B149
	v_mfma_f32_16x16x16_bf16 v[176:179], v[120:121], v[144:145], v[176:179]// 000000007924: D3E100B0 06C32178
	ds_write_b32 v18, v48 offset:17408                         // 00000000792C: D81A4400 00003012
	v_mfma_f32_16x16x16_bf16 v[180:183], v[122:123], v[144:145], v[180:183]// 000000007934: D3E100B4 06D3217A
	v_perm_b32 v49, v16, v73, v15                              // 00000000793C: D1ED0031 043E9310
	v_mov_b32_dpp v16, v74 quad_perm:[1,0,3,2] row_mask:0xf bank_mask:0xf// 000000007944: 7E2002FA FF00B14A
	v_perm_b32 v50, v16, v74, v15                              // 00000000794C: D1ED0032 043E9510
	v_mfma_f32_16x16x16_bf16 v[184:187], v[108:109], v[146:147], v[184:187]// 000000007954: D3E100B8 06E3256C
	ds_write_b32 v18, v49 offset:17952                         // 00000000795C: D81A4620 00003112
	v_mfma_f32_16x16x16_bf16 v[188:191], v[110:111], v[146:147], v[188:191]// 000000007964: D3E100BC 06F3256E
	v_subrev_f32_dpp v78, v150, v78 quad_perm:[2,2,2,2] row_mask:0xf bank_mask:0xf// 00000000796C: 069C9CFA FF00AA96
	v_subrev_f32_dpp v79, v150, v79 quad_perm:[3,3,3,3] row_mask:0xf bank_mask:0xf// 000000007974: 069E9EFA FF00FF96
	v_subrev_f32_dpp v80, v150, v80 quad_perm:[0,0,0,0] row_mask:0xf bank_mask:0xf// 00000000797C: 06A0A0FA FF000096
	v_mfma_f32_16x16x16_bf16 v[192:195], v[112:113], v[146:147], v[192:195]// 000000007984: D3E100C0 07032570
	ds_write_b32 v18, v50 offset:19712                         // 00000000798C: D81A4D00 00003212
	v_mfma_f32_16x16x16_bf16 v[196:199], v[114:115], v[146:147], v[196:199]// 000000007994: D3E100C4 07132572
	v_subrev_f32_dpp v81, v150, v81 quad_perm:[1,1,1,1] row_mask:0xf bank_mask:0xf// 00000000799C: 06A2A2FA FF005596
	v_subrev_f32_dpp v82, v150, v82 quad_perm:[2,2,2,2] row_mask:0xf bank_mask:0xf// 0000000079A4: 06A4A4FA FF00AA96
	v_subrev_f32_dpp v83, v150, v83 quad_perm:[3,3,3,3] row_mask:0xf bank_mask:0xf// 0000000079AC: 06A6A6FA FF00FF96
	v_mfma_f32_16x16x16_bf16 v[200:203], v[116:117], v[146:147], v[200:203]// 0000000079B4: D3E100C8 07232574
	v_mul_f32_e32 v78, v54, v78                                // 0000000079BC: 0A9C9D36
	v_mul_f32_e32 v79, v55, v79                                // 0000000079C0: 0A9E9F37
	v_mul_f32_e32 v80, v56, v80                                // 0000000079C4: 0AA0A138
	v_mfma_f32_16x16x16_bf16 v[204:207], v[118:119], v[146:147], v[204:207]// 0000000079C8: D3E100CC 07332576
	v_mul_f32_e32 v81, v57, v81                                // 0000000079D0: 0AA2A339
	v_mul_f32_e32 v82, v58, v82                                // 0000000079D4: 0AA4A53A
	v_mul_f32_e32 v83, v59, v83                                // 0000000079D8: 0AA6A73B
	v_mfma_f32_16x16x16_bf16 v[208:211], v[120:121], v[146:147], v[208:211]// 0000000079DC: D3E100D0 07432578
	v_perm_b32 v75, v79, v78, s64                              // 0000000079E4: D1ED004B 01029D4F
	v_perm_b32 v76, v81, v80, s64                              // 0000000079EC: D1ED004C 0102A151
	v_perm_b32 v77, v83, v82, s64                              // 0000000079F4: D1ED004D 0102A553
	v_mfma_f32_16x16x16_bf16 v[212:215], v[122:123], v[146:147], v[212:215]// 0000000079FC: D3E100D4 0753257A
	v_mov_b32_dpp v16, v75 quad_perm:[1,0,3,2] row_mask:0xf bank_mask:0xf// 000000007A04: 7E2002FA FF00B14B
	v_perm_b32 v51, v16, v75, v15                              // 000000007A0C: D1ED0033 043E9710
	v_mov_b32_dpp v16, v76 quad_perm:[1,0,3,2] row_mask:0xf bank_mask:0xf// 000000007A14: 7E2002FA FF00B14C
	v_mfma_f32_16x16x16_bf16 v[216:219], v[108:109], v[148:149], v[216:219]// 000000007A1C: D3E100D8 0763296C
	ds_write_b32 v18, v51 offset:20256                         // 000000007A24: D81A4F20 00003312
	v_mfma_f32_16x16x16_bf16 v[220:223], v[110:111], v[148:149], v[220:223]// 000000007A2C: D3E100DC 0773296E
	v_perm_b32 v52, v16, v76, v15                              // 000000007A34: D1ED0034 043E9910
	v_mov_b32_dpp v16, v77 quad_perm:[1,0,3,2] row_mask:0xf bank_mask:0xf// 000000007A3C: 7E2002FA FF00B14D
	v_perm_b32 v53, v16, v77, v15                              // 000000007A44: D1ED0035 043E9B10
	v_mfma_f32_16x16x16_bf16 v[224:227], v[112:113], v[148:149], v[224:227]// 000000007A4C: D3E100E0 07832970
	ds_write_b32 v18, v52 offset:22016                         // 000000007A54: D81A5600 00003412
	ds_write_b32 v18, v53 offset:22560                         // 000000007A5C: D81A5820 00003512
	v_mfma_f32_16x16x16_bf16 v[228:231], v[114:115], v[148:149], v[228:231]// 000000007A64: D3E100E4 07932972
	v_mfma_f32_16x16x16_bf16 v[232:235], v[116:117], v[148:149], v[232:235]// 000000007A6C: D3E100E8 07A32974
	ds_write_b32 v13, v84 offset:4352                          // 000000007A74: D81A1100 0000540D
	ds_write_b32 v13, v85 offset:5408                          // 000000007A7C: D81A1520 0000550D
	v_mfma_f32_16x16x16_bf16 v[236:239], v[118:119], v[148:149], v[236:239]// 000000007A84: D3E100EC 07B32976
	v_mfma_f32_16x16x16_bf16 v[240:243], v[120:121], v[148:149], v[240:243]// 000000007A8C: D3E100F0 07C32978
	ds_write_b32 v13, v86 offset:4480                          // 000000007A94: D81A1180 0000560D
	ds_write_b32 v13, v87 offset:5536                          // 000000007A9C: D81A15A0 0000570D
	v_mfma_f32_16x16x16_bf16 v[244:247], v[122:123], v[148:149], v[244:247]// 000000007AA4: D3E100F4 07D3297A
	s_nop 0                                                    // 000000007AAC: BF800000
	s_nop 0                                                    // 000000007AB0: BF800000
	s_nop 0                                                    // 000000007AB4: BF800000
	s_barrier                                                  // 000000007AB8: BF8A0000
	v_mfma_f32_16x16x16_bf16 a[160:163], a[144:145], v[72:73], a[160:163]// 000000007ABC: D3E180A0 0E829190
	ds_read_b32 v124, v21 offset:51200                         // 000000007AC4: D86CC800 7C000015
	ds_read_b32 v150, v21 offset:51456                         // 000000007ACC: D86CC900 96000015
	v_mfma_f32_16x16x16_bf16 a[164:167], a[146:147], v[72:73], a[164:167]// 000000007AD4: D3E180A4 0E929192
	buffer_atomic_add_f32 v136, v7, s[32:35], 0 offen          // 000000007ADC: E1341000 80088807
	v_mfma_f32_16x16x16_bf16 a[168:171], a[148:149], v[72:73], a[168:171]// 000000007AE4: D3E180A8 0EA29194
	s_waitcnt lgkmcnt(6)                                       // 000000007AEC: BF8CC67F
	s_barrier                                                  // 000000007AF0: BF8A0000
	v_mfma_f32_16x16x16_bf16 a[172:175], a[150:151], v[72:73], a[172:175]// 000000007AF4: D3E180AC 0EB29196
	v_mfma_f32_16x16x16_bf16 a[176:179], a[152:153], v[72:73], a[176:179]// 000000007AFC: D3E180B0 0EC29198
	ds_read_b128 v[48:51], v17 offset:17408                    // 000000007B04: D9FE4400 30000011
	v_mfma_f32_16x16x16_bf16 a[180:183], a[154:155], v[72:73], a[180:183]// 000000007B0C: D3E180B4 0ED2919A
	v_mfma_f32_16x16x16_bf16 a[184:187], a[156:157], v[72:73], a[184:187]// 000000007B14: D3E180B8 0EE2919C
	ds_read_b128 v[52:55], v17 offset:18560                    // 000000007B1C: D9FE4880 34000011
	v_mfma_f32_16x16x16_bf16 a[188:191], a[158:159], v[72:73], a[188:191]// 000000007B24: D3E180BC 0EF2919E
	buffer_atomic_add_f32 v137, v8, s[32:35], 0 offen          // 000000007B2C: E1341000 80088908
	v_mfma_f32_16x16x16_bf16 a[192:195], a[144:145], v[74:75], a[192:195]// 000000007B34: D3E180C0 0F029590
	ds_read_b128 v[56:59], v17 offset:19712                    // 000000007B3C: D9FE4D00 38000011
	v_mfma_f32_16x16x16_bf16 a[196:199], a[146:147], v[74:75], a[196:199]// 000000007B44: D3E180C4 0F129592
	v_mfma_f32_16x16x16_bf16 a[200:203], a[148:149], v[74:75], a[200:203]// 000000007B4C: D3E180C8 0F229594
	ds_read_b128 v[60:63], v17 offset:20864                    // 000000007B54: D9FE5180 3C000011
	v_mfma_f32_16x16x16_bf16 a[204:207], a[150:151], v[74:75], a[204:207]// 000000007B5C: D3E180CC 0F329596
	v_mfma_f32_16x16x16_bf16 a[208:211], a[152:153], v[74:75], a[208:211]// 000000007B64: D3E180D0 0F429598
	ds_read_b128 v[64:67], v17 offset:22016                    // 000000007B6C: D9FE5600 40000011
	v_mfma_f32_16x16x16_bf16 a[212:215], a[154:155], v[74:75], a[212:215]// 000000007B74: D3E180D4 0F52959A
	buffer_atomic_add_f32 v138, v7, s[32:35], 0 offen offset:128// 000000007B7C: E1341080 80088A07
	v_mfma_f32_16x16x16_bf16 a[216:219], a[156:157], v[74:75], a[216:219]// 000000007B84: D3E180D8 0F62959C
	ds_read_b128 v[68:71], v17 offset:23168                    // 000000007B8C: D9FE5A80 44000011
	v_mfma_f32_16x16x16_bf16 a[220:223], a[158:159], v[74:75], a[220:223]// 000000007B94: D3E180DC 0F72959E
	v_mfma_f32_16x16x16_bf16 a[224:227], a[144:145], v[76:77], a[224:227]// 000000007B9C: D3E180E0 0F829990
	ds_write_b32 v13, v88 offset:13056                         // 000000007BA4: D81A3300 0000580D
	v_mfma_f32_16x16x16_bf16 a[228:231], a[146:147], v[76:77], a[228:231]// 000000007BAC: D3E180E4 0F929992
	v_mfma_f32_16x16x16_bf16 a[232:235], a[148:149], v[76:77], a[232:235]// 000000007BB4: D3E180E8 0FA29994
	ds_write_b32 v13, v89 offset:14112                         // 000000007BBC: D81A3720 0000590D
	v_mfma_f32_16x16x16_bf16 a[236:239], a[150:151], v[76:77], a[236:239]// 000000007BC4: D3E180EC 0FB29996
	buffer_atomic_add_f32 v139, v8, s[32:35], 0 offen offset:128// 000000007BCC: E1341080 80088B08
	v_mfma_f32_16x16x16_bf16 a[240:243], a[152:153], v[76:77], a[240:243]// 000000007BD4: D3E180F0 0FC29998
	ds_write_b32 v13, v90 offset:13184                         // 000000007BDC: D81A3380 00005A0D
	v_mfma_f32_16x16x16_bf16 a[244:247], a[154:155], v[76:77], a[244:247]// 000000007BE4: D3E180F4 0FD2999A
	v_mfma_f32_16x16x16_bf16 a[248:251], a[156:157], v[76:77], a[248:251]// 000000007BEC: D3E180F8 0FE2999C
	ds_write_b32 v13, v91 offset:14240                         // 000000007BF4: D81A37A0 00005B0D
	v_mfma_f32_16x16x16_bf16 a[252:255], a[158:159], v[76:77], a[252:255]// 000000007BFC: D3E180FC 0FF2999E
	s_waitcnt vmcnt(8) lgkmcnt(4)                              // 000000007C04: BF8C0478
	s_barrier                                                  // 000000007C08: BF8A0000
	v_mfma_f32_16x16x16_bf16 v[128:131], v[48:49], a[48:49], 0 // 000000007C0C: D3E10080 12026130
	ds_read_b128 a[144:147], v10                               // 000000007C14: DBFE0000 9000000A
	buffer_load_dword v36, v1, s[8:11], 0 idxen                // 000000007C1C: E0502000 80022401
	v_mfma_f32_16x16x16_bf16 v[128:131], v[50:51], a[52:53], v[128:131]// 000000007C24: D3E10080 16026932
	v_mul_f32_e32 v124, s48, v124                              // 000000007C2C: 0AF8F830
	s_nop 0                                                    // 000000007C30: BF800000
	v_mfma_f32_16x16x16_bf16 v[128:131], v[52:53], a[56:57], v[128:131]// 000000007C34: D3E10080 16027134
	ds_read_b128 a[148:151], v10 offset:512                    // 000000007C3C: DBFE0200 9400000A
	buffer_load_dword v37, v2, s[8:11], 0 idxen                // 000000007C44: E0502000 80022502
	v_mfma_f32_16x16x16_bf16 v[128:131], v[54:55], a[60:61], v[128:131]// 000000007C4C: D3E10080 16027936
	v_mfma_f32_16x16x16_bf16 v[128:131], v[56:57], a[64:65], v[128:131]// 000000007C54: D3E10080 16028138
	ds_read_b128 a[152:155], v10 offset:2176                   // 000000007C5C: DBFE0880 9800000A
	buffer_load_dword v38, v3, s[8:11], 0 idxen                // 000000007C64: E0502000 80022603
	v_mfma_f32_16x16x16_bf16 v[128:131], v[58:59], a[68:69], v[128:131]// 000000007C6C: D3E10080 1602893A
	v_perm_b32 v84, v33, v32, s63                              // 000000007C74: D1ED0054 00FE4121
	v_perm_b32 v85, v33, v32, s64                              // 000000007C7C: D1ED0055 01024121
	v_mfma_f32_16x16x16_bf16 v[128:131], v[60:61], a[72:73], v[128:131]// 000000007C84: D3E10080 1602913C
	ds_read_b128 a[156:159], v10 offset:2688                   // 000000007C8C: DBFE0A80 9C00000A
	buffer_load_dword v39, v4, s[8:11], 0 idxen                // 000000007C94: E0502000 80022704
	v_mfma_f32_16x16x16_bf16 v[128:131], v[62:63], a[76:77], v[128:131]// 000000007C9C: D3E10080 1602993E
	v_perm_b32 v86, v35, v34, s63                              // 000000007CA4: D1ED0056 00FE4523
	v_perm_b32 v87, v35, v34, s64                              // 000000007CAC: D1ED0057 01024523
	v_mfma_f32_16x16x16_bf16 v[128:131], v[64:65], a[80:81], v[128:131]// 000000007CB4: D3E10080 1602A140
	ds_read_b128 v[92:95], v10 offset:8704                     // 000000007CBC: D9FE2200 5C00000A
	buffer_load_dword v44, v252, s[20:23], 0 idxen             // 000000007CC4: E0502000 80052CFC
	v_mfma_f32_16x16x16_bf16 v[128:131], v[66:67], a[84:85], v[128:131]// 000000007CCC: D3E10080 1602A942
	v_perm_b32 v88, v41, v40, s63                              // 000000007CD4: D1ED0058 00FE5129
	v_perm_b32 v89, v41, v40, s64                              // 000000007CDC: D1ED0059 01025129
	v_mfma_f32_16x16x16_bf16 v[128:131], v[68:69], a[88:89], v[128:131]// 000000007CE4: D3E10080 1602B144
	ds_read_b128 v[96:99], v10 offset:9216                     // 000000007CEC: D9FE2400 6000000A
	buffer_load_dword v45, v253, s[20:23], 0 idxen             // 000000007CF4: E0502000 80052DFD
	v_mfma_f32_16x16x16_bf16 v[128:131], v[70:71], a[92:93], v[128:131]// 000000007CFC: D3E10080 1602B946
	v_perm_b32 v90, v43, v42, s63                              // 000000007D04: D1ED005A 00FE552B
	v_perm_b32 v91, v43, v42, s64                              // 000000007D0C: D1ED005B 0102552B
	v_mfma_f32_16x16x16_bf16 v[132:135], v[48:49], a[50:51], 0 // 000000007D14: D3E10084 12026530
	ds_read_b128 v[100:103], v10 offset:10880                  // 000000007D1C: D9FE2A80 6400000A
	buffer_load_dword v46, v254, s[20:23], 0 idxen             // 000000007D24: E0502000 80052EFE
	v_mfma_f32_16x16x16_bf16 v[132:135], v[50:51], a[54:55], v[132:135]// 000000007D2C: D3E10084 16126D32
	v_mov_b32_dpp v127, v124 quad_perm:[3,3,3,3] row_mask:0xf bank_mask:0xf// 000000007D34: 7EFE02FA FF00FF7C
	v_mov_b32_dpp v126, v124 quad_perm:[2,2,2,2] row_mask:0xf bank_mask:0xf// 000000007D3C: 7EFC02FA FF00AA7C
	v_mfma_f32_16x16x16_bf16 v[132:135], v[52:53], a[58:59], v[132:135]// 000000007D44: D3E10084 16127534
	ds_read_b128 v[104:107], v10 offset:11392                  // 000000007D4C: D9FE2C80 6800000A
	buffer_load_dword v47, v255, s[20:23], 0 idxen             // 000000007D54: E0502000 80052FFF
	v_mfma_f32_16x16x16_bf16 v[132:135], v[54:55], a[62:63], v[132:135]// 000000007D5C: D3E10084 16127D36
	v_mov_b32_dpp v125, v124 quad_perm:[1,1,1,1] row_mask:0xf bank_mask:0xf// 000000007D64: 7EFA02FA FF00557C
	v_mov_b32_dpp v124, v124 quad_perm:[0,0,0,0] row_mask:0xf bank_mask:0xf// 000000007D6C: 7EF802FA FF00007C
	s_add_u32 s60, 64, s59                                     // 000000007D74: 803C3BC0
	v_mfma_f32_16x16x16_bf16 v[132:135], v[56:57], a[66:67], v[132:135]// 000000007D78: D3E10084 16128538
	buffer_load_dword v9, s[24:27], 0 idxen lds                // 000000007D80: E0512000 80060009
	v_mfma_f32_16x16x16_bf16 v[132:135], v[58:59], a[70:71], v[132:135]// 000000007D88: D3E10084 16128D3A
	s_cmp_lt_u32 s60, s58                                      // 000000007D90: BF0A3A3C
	s_cselect_b32 s68, s68, 0                                  // 000000007D94: 85448044
	s_cselect_b32 s101, s101, 0                                // 000000007D98: 85658065
	s_cselect_b32 s69, s69, 0                                  // 000000007D9C: 85458045
	v_mfma_f32_16x16x16_bf16 v[132:135], v[60:61], a[74:75], v[132:135]// 000000007DA0: D3E10084 1612953C
	v_add_u32_e32 v1, s68, v1                                  // 000000007DA8: 68020244
	v_add_u32_e32 v2, s68, v2                                  // 000000007DAC: 68040444
	v_add_u32_e32 v3, s68, v3                                  // 000000007DB0: 68060644
	v_add_u32_e32 v4, s68, v4                                  // 000000007DB4: 68080844
	v_mfma_f32_16x16x16_bf16 v[132:135], v[62:63], a[78:79], v[132:135]// 000000007DB8: D3E10084 16129D3E
	v_add_u32_e32 v252, s101, v252                             // 000000007DC0: 69F9F865
	v_add_u32_e32 v253, s101, v253                             // 000000007DC4: 69FBFA65
	v_add_u32_e32 v254, s101, v254                             // 000000007DC8: 69FDFC65
	v_add_u32_e32 v255, s101, v255                             // 000000007DCC: 69FFFE65
	v_mfma_f32_16x16x16_bf16 v[132:135], v[64:65], a[82:83], v[132:135]// 000000007DD0: D3E10084 1612A540
	s_mov_b32 m0, s76                                          // 000000007DD8: BEFC004C
	v_add_u32_e32 v9, s69, v9                                  // 000000007DDC: 68121245
	v_mfma_f32_16x16x16_bf16 v[132:135], v[66:67], a[86:87], v[132:135]// 000000007DE0: D3E10084 1612AD42
	s_cmp_ge_u32 s59, 16                                       // 000000007DE8: BF09903B
	s_cselect_b32 s66, s67, s66                                // 000000007DEC: 85424243
	v_mfma_f32_16x16x16_bf16 v[132:135], v[68:69], a[90:91], v[132:135]// 000000007DF0: D3E10084 1612B544
	s_addk_i32 s59, 0x10                                       // 000000007DF8: B73B0010
	s_nop 0                                                    // 000000007DFC: BF800000
	s_cmp_lt_i32 s59, s58                                      // 000000007E00: BF043A3B
	v_mfma_f32_16x16x16_bf16 v[132:135], v[70:71], a[94:95], v[132:135]// 000000007E04: D3E10084 1612BD46
	s_cbranch_scc0 label_0D7E                                  // 000000007E0C: BF84FD70
	s_waitcnt lgkmcnt(0)                                       // 000000007E10: BF8CC07F
	s_barrier                                                  // 000000007E14: BF8A0000
	v_mfma_f32_16x16x16_bf16 v[48:51], a[144:145], a[0:1], 0   // 000000007E18: D3E10030 1A020190
	v_mul_f32_e32 v128, s47, v128                              // 000000007E20: 0B01002F
	v_mul_f32_e32 v129, s47, v129                              // 000000007E24: 0B03022F
	v_mfma_f32_16x16x16_bf16 v[48:51], a[146:147], a[2:3], v[48:51]// 000000007E28: D3E10030 1CC20592
	ds_write_b32 v11, v40 offset:8704                          // 000000007E30: D81A2200 0000280B
	ds_write_b32 v11, v41 offset:9760                          // 000000007E38: D81A2620 0000290B
	v_mfma_f32_16x16x16_bf16 v[48:51], a[148:149], a[4:5], v[48:51]// 000000007E40: D3E10030 1CC20994
	v_mul_f32_e32 v130, s47, v130                              // 000000007E48: 0B05042F
	v_mul_f32_e32 v131, s47, v131                              // 000000007E4C: 0B07062F
	v_mfma_f32_16x16x16_bf16 v[48:51], a[150:151], a[6:7], v[48:51]// 000000007E50: D3E10030 1CC20D96
	ds_write_b32 v11, v42 offset:8832                          // 000000007E58: D81A2280 00002A0B
	ds_write_b32 v11, v43 offset:9888                          // 000000007E60: D81A26A0 00002B0B
	v_mfma_f32_16x16x16_bf16 v[48:51], a[152:153], a[8:9], v[48:51]// 000000007E68: D3E10030 1CC21198
	v_mul_f32_e32 v132, s47, v132                              // 000000007E70: 0B09082F
	v_mul_f32_e32 v133, s47, v133                              // 000000007E74: 0B0B0A2F
	v_mfma_f32_16x16x16_bf16 v[48:51], a[154:155], a[10:11], v[48:51]// 000000007E78: D3E10030 1CC2159A
	ds_write_b64 v20, v[128:129] offset:24320                  // 000000007E80: D89A5F00 00008014
	v_mfma_f32_16x16x16_bf16 v[48:51], a[156:157], a[12:13], v[48:51]// 000000007E88: D3E10030 1CC2199C
	v_mul_f32_e32 v134, s47, v134                              // 000000007E90: 0B0D0C2F
	v_mul_f32_e32 v135, s47, v135                              // 000000007E94: 0B0F0E2F
	v_mfma_f32_16x16x16_bf16 v[48:51], a[158:159], a[14:15], v[48:51]// 000000007E98: D3E10030 1CC21D9E
	ds_write_b64 v20, v[130:131] offset:24832                  // 000000007EA0: D89A6100 00008214
	v_mfma_f32_16x16x16_bf16 v[52:55], a[144:145], a[16:17], 0 // 000000007EA8: D3E10034 1A022190
	buffer_atomic_add_f32 v140, v7, s[32:35], 0 offen offset:256// 000000007EB0: E1341100 80088C07
	v_mfma_f32_16x16x16_bf16 v[52:55], a[146:147], a[18:19], v[52:55]// 000000007EB8: D3E10034 1CD22592
	ds_write_b64 v20, v[132:133] offset:25344                  // 000000007EC0: D89A6300 00008414
	v_mfma_f32_16x16x16_bf16 v[52:55], a[148:149], a[20:21], v[52:55]// 000000007EC8: D3E10034 1CD22994
	v_mfma_f32_16x16x16_bf16 v[52:55], a[150:151], a[22:23], v[52:55]// 000000007ED0: D3E10034 1CD22D96
	ds_write_b64 v20, v[134:135] offset:25856                  // 000000007ED8: D89A6500 00008614
	v_mfma_f32_16x16x16_bf16 v[52:55], a[152:153], a[24:25], v[52:55]// 000000007EE0: D3E10034 1CD23198
	buffer_atomic_add_f32 v141, v8, s[32:35], 0 offen offset:256// 000000007EE8: E1341100 80088D08
	v_mfma_f32_16x16x16_bf16 v[52:55], a[154:155], a[26:27], v[52:55]// 000000007EF0: D3E10034 1CD2359A
	ds_read_b128 v[108:111], v12 offset:13056                  // 000000007EF8: D9FE3300 6C00000C
	ds_write_b32 v11, v32                                      // 000000007F00: D81A0000 0000200B
	v_mfma_f32_16x16x16_bf16 v[52:55], a[156:157], a[28:29], v[52:55]// 000000007F08: D3E10034 1CD2399C
	v_mfma_f32_16x16x16_bf16 v[52:55], a[158:159], a[30:31], v[52:55]// 000000007F10: D3E10034 1CD23D9E
	v_mfma_f32_16x16x16_bf16 v[56:59], a[144:145], a[32:33], 0 // 000000007F18: D3E10038 1A024190
	ds_read_b128 v[112:115], v12 offset:13568                  // 000000007F20: D9FE3500 7000000C
	ds_write_b32 v11, v33 offset:1056                          // 000000007F28: D81A0420 0000210B
	v_mfma_f32_16x16x16_bf16 v[56:59], a[146:147], a[34:35], v[56:59]// 000000007F30: D3E10038 1CE24592
	buffer_atomic_add_f32 v142, v7, s[32:35], 0 offen offset:384// 000000007F38: E1341180 80088E07
	v_mfma_f32_16x16x16_bf16 v[56:59], a[148:149], a[36:37], v[56:59]// 000000007F40: D3E10038 1CE24994
	v_mfma_f32_16x16x16_bf16 v[56:59], a[150:151], a[38:39], v[56:59]// 000000007F48: D3E10038 1CE24D96
	ds_read_b128 v[116:119], v12 offset:15232                  // 000000007F50: D9FE3B80 7400000C
	ds_write_b32 v11, v34 offset:128                           // 000000007F58: D81A0080 0000220B
	v_mfma_f32_16x16x16_bf16 v[56:59], a[152:153], a[40:41], v[56:59]// 000000007F60: D3E10038 1CE25198
	v_mfma_f32_16x16x16_bf16 v[56:59], a[154:155], a[42:43], v[56:59]// 000000007F68: D3E10038 1CE2559A
	buffer_atomic_add_f32 v143, v8, s[32:35], 0 offen offset:384// 000000007F70: E1341180 80088F08
	v_mfma_f32_16x16x16_bf16 v[56:59], a[156:157], a[44:45], v[56:59]// 000000007F78: D3E10038 1CE2599C
	ds_read_b128 v[120:123], v12 offset:15744                  // 000000007F80: D9FE3D80 7800000C
	ds_write_b32 v11, v35 offset:1184                          // 000000007F88: D81A04A0 0000230B
	v_mfma_f32_16x16x16_bf16 v[56:59], a[158:159], a[46:47], v[56:59]// 000000007F90: D3E10038 1CE25D9E
	s_cmp_lt_i32 s81, 0xc0                                     // 000000007F98: BF04FF51 000000C0
	s_cbranch_scc0 label_10CA                                  // 000000007FA0: BF84004D
	s_cmp_le_i32 s81, 64                                       // 000000007FA4: BF05C051
	s_cbranch_scc1 label_1081                                  // 000000007FA8: BF850007
	s_cmp_le_i32 s81, 0x80                                     // 000000007FAC: BF05FF51 00000080
	s_cbranch_scc1 label_1099                                  // 000000007FB4: BF850017
	s_cmp_lt_i32 s81, 0xc0                                     // 000000007FB8: BF04FF51 000000C0
	s_cbranch_scc1 label_10B1                                  // 000000007FC0: BF85002C
	s_branch label_10CA                                        // 000000007FC4: BF820044

0000000000007fc8 <label_1081>:
	s_mov_b32 s60, 0                                           // 000000007FC8: BEBC0080
	v_and_b32_e32 v28, 15, v0                                  // 000000007FCC: 2638008F
	v_add_u32_e64 v28, v28, s60                                // 000000007FD0: D134001C 0000791C
	v_mul_i32_i24_e64 v29, s46, 16                             // 000000007FD8: D106001D 0001202E
	v_add_u32_e32 v28, v28, v29                                // 000000007FE0: 68383B1C
	v_cmp_lt_u32_e64 s[60:61], v28, s81                        // 000000007FE4: D0C9003C 0000A31C
	s_nop 1                                                    // 000000007FEC: BF800001
	v_cndmask_b32_e64 v48, v151, v48, s[60:61]                 // 000000007FF0: D1000030 00F26197
	v_cndmask_b32_e64 v49, v151, v49, s[60:61]                 // 000000007FF8: D1000031 00F26397
	v_cndmask_b32_e64 v50, v151, v50, s[60:61]                 // 000000008000: D1000032 00F26597
	v_cndmask_b32_e64 v51, v151, v51, s[60:61]                 // 000000008008: D1000033 00F26797
	s_branch label_10AC                                        // 000000008010: BF820013

0000000000008014 <label_1099>:
	s_mov_b32 s60, 64                                          // 000000008014: BEBC00C0
	v_and_b32_e32 v28, 15, v0                                  // 000000008018: 2638008F
	v_add_u32_e64 v28, v28, s60                                // 00000000801C: D134001C 0000791C
	v_mul_i32_i24_e64 v29, s46, 16                             // 000000008024: D106001D 0001202E
	v_add_u32_e32 v28, v28, v29                                // 00000000802C: 68383B1C
	v_cmp_lt_u32_e64 s[60:61], v28, s81                        // 000000008030: D0C9003C 0000A31C
	s_nop 1                                                    // 000000008038: BF800001
	v_cndmask_b32_e64 v52, v151, v52, s[60:61]                 // 00000000803C: D1000034 00F26997
	v_cndmask_b32_e64 v53, v151, v53, s[60:61]                 // 000000008044: D1000035 00F26B97
	v_cndmask_b32_e64 v54, v151, v54, s[60:61]                 // 00000000804C: D1000036 00F26D97
	v_cndmask_b32_e64 v55, v151, v55, s[60:61]                 // 000000008054: D1000037 00F26F97
	s_branch label_10C5                                        // 00000000805C: BF820019

0000000000008060 <label_10AC>:
	v_mov_b32_e32 v52, v151                                    // 000000008060: 7E680397
	v_mov_b32_e32 v53, v151                                    // 000000008064: 7E6A0397
	v_mov_b32_e32 v54, v151                                    // 000000008068: 7E6C0397
	v_mov_b32_e32 v55, v151                                    // 00000000806C: 7E6E0397
	s_branch label_10C5                                        // 000000008070: BF820014

0000000000008074 <label_10B1>:
	s_mov_b32 s60, 0x80                                        // 000000008074: BEBC00FF 00000080
	v_and_b32_e32 v28, 15, v0                                  // 00000000807C: 2638008F
	v_add_u32_e64 v28, v28, s60                                // 000000008080: D134001C 0000791C
	v_mul_i32_i24_e64 v29, s46, 16                             // 000000008088: D106001D 0001202E
	v_add_u32_e32 v28, v28, v29                                // 000000008090: 68383B1C
	v_cmp_lt_u32_e64 s[60:61], v28, s81                        // 000000008094: D0C9003C 0000A31C
	s_nop 1                                                    // 00000000809C: BF800001
	v_cndmask_b32_e64 v56, v151, v56, s[60:61]                 // 0000000080A0: D1000038 00F27197
	v_cndmask_b32_e64 v57, v151, v57, s[60:61]                 // 0000000080A8: D1000039 00F27397
	v_cndmask_b32_e64 v58, v151, v58, s[60:61]                 // 0000000080B0: D100003A 00F27597
	v_cndmask_b32_e64 v59, v151, v59, s[60:61]                 // 0000000080B8: D100003B 00F27797
	s_branch label_10CA                                        // 0000000080C0: BF820005

00000000000080c4 <label_10C5>:
	v_mov_b32_e32 v56, v151                                    // 0000000080C4: 7E700397
	v_mov_b32_e32 v57, v151                                    // 0000000080C8: 7E720397
	v_mov_b32_e32 v58, v151                                    // 0000000080CC: 7E740397
	v_mov_b32_e32 v59, v151                                    // 0000000080D0: 7E760397
	s_branch label_10CA                                        // 0000000080D4: BF820000

00000000000080d8 <label_10CA>:
	s_waitcnt lgkmcnt(8)                                       // 0000000080D8: BF8CC87F
	s_barrier                                                  // 0000000080DC: BF8A0000
	v_mfma_f32_16x16x16_bf16 v[72:75], v[92:93], a[96:97], 0   // 0000000080E0: D3E10048 1202C15C
	v_fma_f32 v48, v48, s57, -v124                             // 0000000080E8: D1CB0030 85F07330
	v_fma_f32 v49, v49, s57, -v125                             // 0000000080F0: D1CB0031 85F47331
	v_fma_f32 v50, v50, s57, -v126                             // 0000000080F8: D1CB0032 85F87332
	v_mfma_f32_16x16x16_bf16 v[72:75], v[94:95], a[98:99], v[72:75]// 000000008100: D3E10048 1522C55E
	ds_read_b128 a[144:147], v12 offset:4352                   // 000000008108: DBFE1100 9000000C
	ds_read_b128 a[148:151], v12 offset:4864                   // 000000008110: DBFE1300 9400000C
	v_mfma_f32_16x16x16_bf16 v[72:75], v[96:97], a[100:101], v[72:75]// 000000008118: D3E10048 1522C960
	v_fma_f32 v51, v51, s57, -v127                             // 000000008120: D1CB0033 85FC7333
	v_fma_f32 v52, v52, s57, -v124                             // 000000008128: D1CB0034 85F07334
	v_fma_f32 v53, v53, s57, -v125                             // 000000008130: D1CB0035 85F47335
	v_mfma_f32_16x16x16_bf16 v[72:75], v[98:99], a[102:103], v[72:75]// 000000008138: D3E10048 1522CD62
	v_fma_f32 v54, v54, s57, -v126                             // 000000008140: D1CB0036 85F87336
	v_fma_f32 v55, v55, s57, -v127                             // 000000008148: D1CB0037 85FC7337
	v_fma_f32 v56, v56, s57, -v124                             // 000000008150: D1CB0038 85F07338
	v_mfma_f32_16x16x16_bf16 v[72:75], v[100:101], a[104:105], v[72:75]// 000000008158: D3E10048 1522D164
	v_fma_f32 v57, v57, s57, -v125                             // 000000008160: D1CB0039 85F47339
	v_fma_f32 v58, v58, s57, -v126                             // 000000008168: D1CB003A 85F8733A
	v_fma_f32 v59, v59, s57, -v127                             // 000000008170: D1CB003B 85FC733B
	v_mfma_f32_16x16x16_bf16 v[72:75], v[102:103], a[106:107], v[72:75]// 000000008178: D3E10048 1522D566
	ds_read_b128 a[152:155], v12 offset:6528                   // 000000008180: DBFE1980 9800000C
	ds_read_b128 a[156:159], v12 offset:7040                   // 000000008188: DBFE1B80 9C00000C
	v_mfma_f32_16x16x16_bf16 v[72:75], v[104:105], a[108:109], v[72:75]// 000000008190: D3E10048 1522D968
	v_exp_f32_e32 v48, v48                                     // 000000008198: 7E604130
	v_mfma_f32_16x16x16_bf16 v[72:75], v[106:107], a[110:111], v[72:75]// 00000000819C: D3E10048 1522DD6A
	v_exp_f32_e32 v49, v49                                     // 0000000081A4: 7E624131
	v_mfma_f32_16x16x16_bf16 v[76:79], v[92:93], a[112:113], 0 // 0000000081A8: D3E1004C 1202E15C
	v_exp_f32_e32 v50, v50                                     // 0000000081B0: 7E644132
	v_mfma_f32_16x16x16_bf16 v[76:79], v[94:95], a[114:115], v[76:79]// 0000000081B4: D3E1004C 1532E55E
	ds_read_b64 v[136:137], v19 offset:24320                   // 0000000081BC: D8EC5F00 88000013
	ds_read_b64 v[138:139], v19 offset:26368                   // 0000000081C4: D8EC6700 8A000013
	v_mfma_f32_16x16x16_bf16 v[76:79], v[96:97], a[116:117], v[76:79]// 0000000081CC: D3E1004C 1532E960
	v_exp_f32_e32 v51, v51                                     // 0000000081D4: 7E664133
	v_mfma_f32_16x16x16_bf16 v[76:79], v[98:99], a[118:119], v[76:79]// 0000000081D8: D3E1004C 1532ED62
	ds_read_b64 v[140:141], v19 offset:28416                   // 0000000081E0: D8EC6F00 8C000013
	ds_read_b64 v[142:143], v19 offset:30464                   // 0000000081E8: D8EC7700 8E000013
	v_mfma_f32_16x16x16_bf16 v[76:79], v[100:101], a[120:121], v[76:79]// 0000000081F0: D3E1004C 1532F164
	v_exp_f32_e32 v52, v52                                     // 0000000081F8: 7E684134
	v_mfma_f32_16x16x16_bf16 v[76:79], v[102:103], a[122:123], v[76:79]// 0000000081FC: D3E1004C 1532F566
	v_exp_f32_e32 v53, v53                                     // 000000008204: 7E6A4135
	v_mfma_f32_16x16x16_bf16 v[76:79], v[104:105], a[124:125], v[76:79]// 000000008208: D3E1004C 1532F968
	v_exp_f32_e32 v54, v54                                     // 000000008210: 7E6C4136
	v_mfma_f32_16x16x16_bf16 v[76:79], v[106:107], a[126:127], v[76:79]// 000000008214: D3E1004C 1532FD6A
	v_exp_f32_e32 v55, v55                                     // 00000000821C: 7E6E4137
	v_mfma_f32_16x16x16_bf16 v[80:83], v[92:93], a[128:129], 0 // 000000008220: D3E10050 1203015C
	v_exp_f32_e32 v56, v56                                     // 000000008228: 7E704138
	v_mfma_f32_16x16x16_bf16 v[80:83], v[94:95], a[130:131], v[80:83]// 00000000822C: D3E10050 1543055E
	v_exp_f32_e32 v57, v57                                     // 000000008234: 7E724139
	v_mfma_f32_16x16x16_bf16 v[80:83], v[96:97], a[132:133], v[80:83]// 000000008238: D3E10050 15430960
	v_exp_f32_e32 v58, v58                                     // 000000008240: 7E74413A
	v_mfma_f32_16x16x16_bf16 v[80:83], v[98:99], a[134:135], v[80:83]// 000000008244: D3E10050 15430D62
	v_exp_f32_e32 v59, v59                                     // 00000000824C: 7E76413B
	v_mfma_f32_16x16x16_bf16 v[80:83], v[100:101], a[136:137], v[80:83]// 000000008250: D3E10050 15431164
	v_perm_b32 v144, v49, v48, s64                             // 000000008258: D1ED0090 01026131
	v_perm_b32 v145, v51, v50, s64                             // 000000008260: D1ED0091 01026533
	v_perm_b32 v146, v53, v52, s64                             // 000000008268: D1ED0092 01026935
	v_mfma_f32_16x16x16_bf16 v[80:83], v[102:103], a[138:139], v[80:83]// 000000008270: D3E10050 15431566
	v_perm_b32 v147, v55, v54, s64                             // 000000008278: D1ED0093 01026D37
	v_perm_b32 v148, v57, v56, s64                             // 000000008280: D1ED0094 01027139
	v_perm_b32 v149, v59, v58, s64                             // 000000008288: D1ED0095 0102753B
	v_mfma_f32_16x16x16_bf16 v[80:83], v[104:105], a[140:141], v[80:83]// 000000008290: D3E10050 15431968
	v_add_u32_e32 v7, s66, v7                                  // 000000008298: 680E0E42
	v_add_u32_e32 v8, s66, v8                                  // 00000000829C: 68101042
	v_mfma_f32_16x16x16_bf16 v[80:83], v[106:107], a[142:143], v[80:83]// 0000000082A0: D3E10050 15431D6A
	s_waitcnt lgkmcnt(0)                                       // 0000000082A8: BF8CC07F
	s_barrier                                                  // 0000000082AC: BF8A0000
	v_mfma_f32_16x16x16_bf16 v[152:155], v[108:109], v[144:145], v[152:155]// 0000000082B0: D3E10098 0663216C
	v_subrev_f32_dpp v72, v150, v72 quad_perm:[0,0,0,0] row_mask:0xf bank_mask:0xf// 0000000082B8: 069090FA FF000096
	v_subrev_f32_dpp v73, v150, v73 quad_perm:[1,1,1,1] row_mask:0xf bank_mask:0xf// 0000000082C0: 069292FA FF005596
	v_subrev_f32_dpp v74, v150, v74 quad_perm:[2,2,2,2] row_mask:0xf bank_mask:0xf// 0000000082C8: 069494FA FF00AA96
	v_mfma_f32_16x16x16_bf16 v[156:159], v[110:111], v[144:145], v[156:159]// 0000000082D0: D3E1009C 0673216E
	v_subrev_f32_dpp v75, v150, v75 quad_perm:[3,3,3,3] row_mask:0xf bank_mask:0xf// 0000000082D8: 069696FA FF00FF96
	v_subrev_f32_dpp v76, v150, v76 quad_perm:[0,0,0,0] row_mask:0xf bank_mask:0xf// 0000000082E0: 069898FA FF000096
	v_subrev_f32_dpp v77, v150, v77 quad_perm:[1,1,1,1] row_mask:0xf bank_mask:0xf// 0000000082E8: 069A9AFA FF005596
	v_mfma_f32_16x16x16_bf16 v[160:163], v[112:113], v[144:145], v[160:163]// 0000000082F0: D3E100A0 06832170
	v_mul_f32_e32 v72, v48, v72                                // 0000000082F8: 0A909130
	v_mul_f32_e32 v73, v49, v73                                // 0000000082FC: 0A929331
	v_mul_f32_e32 v74, v50, v74                                // 000000008300: 0A949532
	v_mfma_f32_16x16x16_bf16 v[164:167], v[114:115], v[144:145], v[164:167]// 000000008304: D3E100A4 06932172
	v_mul_f32_e32 v75, v51, v75                                // 00000000830C: 0A969733
	v_mul_f32_e32 v76, v52, v76                                // 000000008310: 0A989934
	v_mul_f32_e32 v77, v53, v77                                // 000000008314: 0A9A9B35
	v_mfma_f32_16x16x16_bf16 v[168:171], v[116:117], v[144:145], v[168:171]// 000000008318: D3E100A8 06A32174
	v_perm_b32 v72, v73, v72, s64                              // 000000008320: D1ED0048 01029149
	v_perm_b32 v73, v75, v74, s64                              // 000000008328: D1ED0049 0102954B
	v_perm_b32 v74, v77, v76, s64                              // 000000008330: D1ED004A 0102994D
	v_mfma_f32_16x16x16_bf16 v[172:175], v[118:119], v[144:145], v[172:175]// 000000008338: D3E100AC 06B32176
	v_mov_b32_dpp v16, v72 quad_perm:[1,0,3,2] row_mask:0xf bank_mask:0xf// 000000008340: 7E2002FA FF00B148
	v_perm_b32 v48, v16, v72, v15                              // 000000008348: D1ED0030 043E9110
	v_mov_b32_dpp v16, v73 quad_perm:[1,0,3,2] row_mask:0xf bank_mask:0xf// 000000008350: 7E2002FA FF00B149
	v_mfma_f32_16x16x16_bf16 v[176:179], v[120:121], v[144:145], v[176:179]// 000000008358: D3E100B0 06C32178
	ds_write_b32 v18, v48 offset:17408                         // 000000008360: D81A4400 00003012
	v_mfma_f32_16x16x16_bf16 v[180:183], v[122:123], v[144:145], v[180:183]// 000000008368: D3E100B4 06D3217A
	v_perm_b32 v49, v16, v73, v15                              // 000000008370: D1ED0031 043E9310
	v_mov_b32_dpp v16, v74 quad_perm:[1,0,3,2] row_mask:0xf bank_mask:0xf// 000000008378: 7E2002FA FF00B14A
	v_perm_b32 v50, v16, v74, v15                              // 000000008380: D1ED0032 043E9510
	v_mfma_f32_16x16x16_bf16 v[184:187], v[108:109], v[146:147], v[184:187]// 000000008388: D3E100B8 06E3256C
	ds_write_b32 v18, v49 offset:17952                         // 000000008390: D81A4620 00003112
	v_mfma_f32_16x16x16_bf16 v[188:191], v[110:111], v[146:147], v[188:191]// 000000008398: D3E100BC 06F3256E
	v_subrev_f32_dpp v78, v150, v78 quad_perm:[2,2,2,2] row_mask:0xf bank_mask:0xf// 0000000083A0: 069C9CFA FF00AA96
	v_subrev_f32_dpp v79, v150, v79 quad_perm:[3,3,3,3] row_mask:0xf bank_mask:0xf// 0000000083A8: 069E9EFA FF00FF96
	v_subrev_f32_dpp v80, v150, v80 quad_perm:[0,0,0,0] row_mask:0xf bank_mask:0xf// 0000000083B0: 06A0A0FA FF000096
	v_mfma_f32_16x16x16_bf16 v[192:195], v[112:113], v[146:147], v[192:195]// 0000000083B8: D3E100C0 07032570
	ds_write_b32 v18, v50 offset:19712                         // 0000000083C0: D81A4D00 00003212
	v_mfma_f32_16x16x16_bf16 v[196:199], v[114:115], v[146:147], v[196:199]// 0000000083C8: D3E100C4 07132572
	v_subrev_f32_dpp v81, v150, v81 quad_perm:[1,1,1,1] row_mask:0xf bank_mask:0xf// 0000000083D0: 06A2A2FA FF005596
	v_subrev_f32_dpp v82, v150, v82 quad_perm:[2,2,2,2] row_mask:0xf bank_mask:0xf// 0000000083D8: 06A4A4FA FF00AA96
	v_subrev_f32_dpp v83, v150, v83 quad_perm:[3,3,3,3] row_mask:0xf bank_mask:0xf// 0000000083E0: 06A6A6FA FF00FF96
	v_mfma_f32_16x16x16_bf16 v[200:203], v[116:117], v[146:147], v[200:203]// 0000000083E8: D3E100C8 07232574
	v_mul_f32_e32 v78, v54, v78                                // 0000000083F0: 0A9C9D36
	v_mul_f32_e32 v79, v55, v79                                // 0000000083F4: 0A9E9F37
	v_mul_f32_e32 v80, v56, v80                                // 0000000083F8: 0AA0A138
	v_mfma_f32_16x16x16_bf16 v[204:207], v[118:119], v[146:147], v[204:207]// 0000000083FC: D3E100CC 07332576
	v_mul_f32_e32 v81, v57, v81                                // 000000008404: 0AA2A339
	v_mul_f32_e32 v82, v58, v82                                // 000000008408: 0AA4A53A
	v_mul_f32_e32 v83, v59, v83                                // 00000000840C: 0AA6A73B
	v_mfma_f32_16x16x16_bf16 v[208:211], v[120:121], v[146:147], v[208:211]// 000000008410: D3E100D0 07432578
	v_perm_b32 v75, v79, v78, s64                              // 000000008418: D1ED004B 01029D4F
	v_perm_b32 v76, v81, v80, s64                              // 000000008420: D1ED004C 0102A151
	v_perm_b32 v77, v83, v82, s64                              // 000000008428: D1ED004D 0102A553
	v_mfma_f32_16x16x16_bf16 v[212:215], v[122:123], v[146:147], v[212:215]// 000000008430: D3E100D4 0753257A
	v_mov_b32_dpp v16, v75 quad_perm:[1,0,3,2] row_mask:0xf bank_mask:0xf// 000000008438: 7E2002FA FF00B14B
	v_perm_b32 v51, v16, v75, v15                              // 000000008440: D1ED0033 043E9710
	v_mov_b32_dpp v16, v76 quad_perm:[1,0,3,2] row_mask:0xf bank_mask:0xf// 000000008448: 7E2002FA FF00B14C
	v_mfma_f32_16x16x16_bf16 v[216:219], v[108:109], v[148:149], v[216:219]// 000000008450: D3E100D8 0763296C
	ds_write_b32 v18, v51 offset:20256                         // 000000008458: D81A4F20 00003312
	v_mfma_f32_16x16x16_bf16 v[220:223], v[110:111], v[148:149], v[220:223]// 000000008460: D3E100DC 0773296E
	v_perm_b32 v52, v16, v76, v15                              // 000000008468: D1ED0034 043E9910
	v_mov_b32_dpp v16, v77 quad_perm:[1,0,3,2] row_mask:0xf bank_mask:0xf// 000000008470: 7E2002FA FF00B14D
	v_perm_b32 v53, v16, v77, v15                              // 000000008478: D1ED0035 043E9B10
	v_mfma_f32_16x16x16_bf16 v[224:227], v[112:113], v[148:149], v[224:227]// 000000008480: D3E100E0 07832970
	ds_write_b32 v18, v52 offset:22016                         // 000000008488: D81A5600 00003412
	ds_write_b32 v18, v53 offset:22560                         // 000000008490: D81A5820 00003512
	v_mfma_f32_16x16x16_bf16 v[228:231], v[114:115], v[148:149], v[228:231]// 000000008498: D3E100E4 07932972
	v_mfma_f32_16x16x16_bf16 v[232:235], v[116:117], v[148:149], v[232:235]// 0000000084A0: D3E100E8 07A32974
	ds_write_b32 v13, v84 offset:4352                          // 0000000084A8: D81A1100 0000540D
	ds_write_b32 v13, v85 offset:5408                          // 0000000084B0: D81A1520 0000550D
	v_mfma_f32_16x16x16_bf16 v[236:239], v[118:119], v[148:149], v[236:239]// 0000000084B8: D3E100EC 07B32976
	v_mfma_f32_16x16x16_bf16 v[240:243], v[120:121], v[148:149], v[240:243]// 0000000084C0: D3E100F0 07C32978
	ds_write_b32 v13, v86 offset:4480                          // 0000000084C8: D81A1180 0000560D
	ds_write_b32 v13, v87 offset:5536                          // 0000000084D0: D81A15A0 0000570D
	v_mfma_f32_16x16x16_bf16 v[244:247], v[122:123], v[148:149], v[244:247]// 0000000084D8: D3E100F4 07D3297A
	s_nop 0                                                    // 0000000084E0: BF800000
	s_nop 0                                                    // 0000000084E4: BF800000
	s_nop 0                                                    // 0000000084E8: BF800000
	s_barrier                                                  // 0000000084EC: BF8A0000
	v_mfma_f32_16x16x16_bf16 a[160:163], a[144:145], v[72:73], a[160:163]// 0000000084F0: D3E180A0 0E829190
	ds_read_b32 v124, v21 offset:50688                         // 0000000084F8: D86CC600 7C000015
	ds_read_b32 v150, v21 offset:50944                         // 000000008500: D86CC700 96000015
	v_mfma_f32_16x16x16_bf16 a[164:167], a[146:147], v[72:73], a[164:167]// 000000008508: D3E180A4 0E929192
	buffer_atomic_add_f32 v136, v7, s[32:35], 0 offen          // 000000008510: E1341000 80088807
	v_mfma_f32_16x16x16_bf16 a[168:171], a[148:149], v[72:73], a[168:171]// 000000008518: D3E180A8 0EA29194
	s_waitcnt lgkmcnt(6)                                       // 000000008520: BF8CC67F
	s_barrier                                                  // 000000008524: BF8A0000
	v_mfma_f32_16x16x16_bf16 a[172:175], a[150:151], v[72:73], a[172:175]// 000000008528: D3E180AC 0EB29196
	v_mfma_f32_16x16x16_bf16 a[176:179], a[152:153], v[72:73], a[176:179]// 000000008530: D3E180B0 0EC29198
	ds_read_b128 v[48:51], v17 offset:17408                    // 000000008538: D9FE4400 30000011
	v_mfma_f32_16x16x16_bf16 a[180:183], a[154:155], v[72:73], a[180:183]// 000000008540: D3E180B4 0ED2919A
	v_mfma_f32_16x16x16_bf16 a[184:187], a[156:157], v[72:73], a[184:187]// 000000008548: D3E180B8 0EE2919C
	ds_read_b128 v[52:55], v17 offset:18560                    // 000000008550: D9FE4880 34000011
	v_mfma_f32_16x16x16_bf16 a[188:191], a[158:159], v[72:73], a[188:191]// 000000008558: D3E180BC 0EF2919E
	buffer_atomic_add_f32 v137, v8, s[32:35], 0 offen          // 000000008560: E1341000 80088908
	v_mfma_f32_16x16x16_bf16 a[192:195], a[144:145], v[74:75], a[192:195]// 000000008568: D3E180C0 0F029590
	ds_read_b128 v[56:59], v17 offset:19712                    // 000000008570: D9FE4D00 38000011
	v_mfma_f32_16x16x16_bf16 a[196:199], a[146:147], v[74:75], a[196:199]// 000000008578: D3E180C4 0F129592
	v_mfma_f32_16x16x16_bf16 a[200:203], a[148:149], v[74:75], a[200:203]// 000000008580: D3E180C8 0F229594
	ds_read_b128 v[60:63], v17 offset:20864                    // 000000008588: D9FE5180 3C000011
	v_mfma_f32_16x16x16_bf16 a[204:207], a[150:151], v[74:75], a[204:207]// 000000008590: D3E180CC 0F329596
	v_mfma_f32_16x16x16_bf16 a[208:211], a[152:153], v[74:75], a[208:211]// 000000008598: D3E180D0 0F429598
	ds_read_b128 v[64:67], v17 offset:22016                    // 0000000085A0: D9FE5600 40000011
	v_mfma_f32_16x16x16_bf16 a[212:215], a[154:155], v[74:75], a[212:215]// 0000000085A8: D3E180D4 0F52959A
	buffer_atomic_add_f32 v138, v7, s[32:35], 0 offen offset:128// 0000000085B0: E1341080 80088A07
	v_mfma_f32_16x16x16_bf16 a[216:219], a[156:157], v[74:75], a[216:219]// 0000000085B8: D3E180D8 0F62959C
	ds_read_b128 v[68:71], v17 offset:23168                    // 0000000085C0: D9FE5A80 44000011
	v_mfma_f32_16x16x16_bf16 a[220:223], a[158:159], v[74:75], a[220:223]// 0000000085C8: D3E180DC 0F72959E
	v_mfma_f32_16x16x16_bf16 a[224:227], a[144:145], v[76:77], a[224:227]// 0000000085D0: D3E180E0 0F829990
	ds_write_b32 v13, v88 offset:13056                         // 0000000085D8: D81A3300 0000580D
	v_mfma_f32_16x16x16_bf16 a[228:231], a[146:147], v[76:77], a[228:231]// 0000000085E0: D3E180E4 0F929992
	v_mfma_f32_16x16x16_bf16 a[232:235], a[148:149], v[76:77], a[232:235]// 0000000085E8: D3E180E8 0FA29994
	ds_write_b32 v13, v89 offset:14112                         // 0000000085F0: D81A3720 0000590D
	v_mfma_f32_16x16x16_bf16 a[236:239], a[150:151], v[76:77], a[236:239]// 0000000085F8: D3E180EC 0FB29996
	buffer_atomic_add_f32 v139, v8, s[32:35], 0 offen offset:128// 000000008600: E1341080 80088B08
	v_mfma_f32_16x16x16_bf16 a[240:243], a[152:153], v[76:77], a[240:243]// 000000008608: D3E180F0 0FC29998
	ds_write_b32 v13, v90 offset:13184                         // 000000008610: D81A3380 00005A0D
	v_mfma_f32_16x16x16_bf16 a[244:247], a[154:155], v[76:77], a[244:247]// 000000008618: D3E180F4 0FD2999A
	v_mfma_f32_16x16x16_bf16 a[248:251], a[156:157], v[76:77], a[248:251]// 000000008620: D3E180F8 0FE2999C
	ds_write_b32 v13, v91 offset:14240                         // 000000008628: D81A37A0 00005B0D
	v_mfma_f32_16x16x16_bf16 a[252:255], a[158:159], v[76:77], a[252:255]// 000000008630: D3E180FC 0FF2999E
	s_waitcnt vmcnt(8) lgkmcnt(4)                              // 000000008638: BF8C0478
	s_barrier                                                  // 00000000863C: BF8A0000
	v_mfma_f32_16x16x16_bf16 v[128:131], v[48:49], a[48:49], 0 // 000000008640: D3E10080 12026130
	ds_read_b128 a[144:147], v10                               // 000000008648: DBFE0000 9000000A
	buffer_load_dword v32, v1, s[8:11], 0 idxen                // 000000008650: E0502000 80022001
	v_mfma_f32_16x16x16_bf16 v[128:131], v[50:51], a[52:53], v[128:131]// 000000008658: D3E10080 16026932
	v_mul_f32_e32 v124, s48, v124                              // 000000008660: 0AF8F830
	s_nop 0                                                    // 000000008664: BF800000
	v_mfma_f32_16x16x16_bf16 v[128:131], v[52:53], a[56:57], v[128:131]// 000000008668: D3E10080 16027134
	ds_read_b128 a[148:151], v10 offset:512                    // 000000008670: DBFE0200 9400000A
	buffer_load_dword v33, v2, s[8:11], 0 idxen                // 000000008678: E0502000 80022102
	v_mfma_f32_16x16x16_bf16 v[128:131], v[54:55], a[60:61], v[128:131]// 000000008680: D3E10080 16027936
	v_mfma_f32_16x16x16_bf16 v[128:131], v[56:57], a[64:65], v[128:131]// 000000008688: D3E10080 16028138
	ds_read_b128 a[152:155], v10 offset:2176                   // 000000008690: DBFE0880 9800000A
	buffer_load_dword v34, v3, s[8:11], 0 idxen                // 000000008698: E0502000 80022203
	v_mfma_f32_16x16x16_bf16 v[128:131], v[58:59], a[68:69], v[128:131]// 0000000086A0: D3E10080 1602893A
	v_perm_b32 v84, v37, v36, s63                              // 0000000086A8: D1ED0054 00FE4925
	v_perm_b32 v85, v37, v36, s64                              // 0000000086B0: D1ED0055 01024925
	v_mfma_f32_16x16x16_bf16 v[128:131], v[60:61], a[72:73], v[128:131]// 0000000086B8: D3E10080 1602913C
	ds_read_b128 a[156:159], v10 offset:2688                   // 0000000086C0: DBFE0A80 9C00000A
	buffer_load_dword v35, v4, s[8:11], 0 idxen                // 0000000086C8: E0502000 80022304
	v_mfma_f32_16x16x16_bf16 v[128:131], v[62:63], a[76:77], v[128:131]// 0000000086D0: D3E10080 1602993E
	v_perm_b32 v86, v39, v38, s63                              // 0000000086D8: D1ED0056 00FE4D27
	v_perm_b32 v87, v39, v38, s64                              // 0000000086E0: D1ED0057 01024D27
	v_mfma_f32_16x16x16_bf16 v[128:131], v[64:65], a[80:81], v[128:131]// 0000000086E8: D3E10080 1602A140
	ds_read_b128 v[92:95], v10 offset:8704                     // 0000000086F0: D9FE2200 5C00000A
	buffer_load_dword v40, v252, s[20:23], 0 idxen             // 0000000086F8: E0502000 800528FC
	v_mfma_f32_16x16x16_bf16 v[128:131], v[66:67], a[84:85], v[128:131]// 000000008700: D3E10080 1602A942
	v_perm_b32 v88, v45, v44, s63                              // 000000008708: D1ED0058 00FE592D
	v_perm_b32 v89, v45, v44, s64                              // 000000008710: D1ED0059 0102592D
	v_mfma_f32_16x16x16_bf16 v[128:131], v[68:69], a[88:89], v[128:131]// 000000008718: D3E10080 1602B144
	ds_read_b128 v[96:99], v10 offset:9216                     // 000000008720: D9FE2400 6000000A
	buffer_load_dword v41, v253, s[20:23], 0 idxen             // 000000008728: E0502000 800529FD
	v_mfma_f32_16x16x16_bf16 v[128:131], v[70:71], a[92:93], v[128:131]// 000000008730: D3E10080 1602B946
	v_perm_b32 v90, v47, v46, s63                              // 000000008738: D1ED005A 00FE5D2F
	v_perm_b32 v91, v47, v46, s64                              // 000000008740: D1ED005B 01025D2F
	v_mfma_f32_16x16x16_bf16 v[132:135], v[48:49], a[50:51], 0 // 000000008748: D3E10084 12026530
	ds_read_b128 v[100:103], v10 offset:10880                  // 000000008750: D9FE2A80 6400000A
	buffer_load_dword v42, v254, s[20:23], 0 idxen             // 000000008758: E0502000 80052AFE
	v_mfma_f32_16x16x16_bf16 v[132:135], v[50:51], a[54:55], v[132:135]// 000000008760: D3E10084 16126D32
	v_mov_b32_dpp v127, v124 quad_perm:[3,3,3,3] row_mask:0xf bank_mask:0xf// 000000008768: 7EFE02FA FF00FF7C
	v_mov_b32_dpp v126, v124 quad_perm:[2,2,2,2] row_mask:0xf bank_mask:0xf// 000000008770: 7EFC02FA FF00AA7C
	v_mfma_f32_16x16x16_bf16 v[132:135], v[52:53], a[58:59], v[132:135]// 000000008778: D3E10084 16127534
	ds_read_b128 v[104:107], v10 offset:11392                  // 000000008780: D9FE2C80 6800000A
	buffer_load_dword v43, v255, s[20:23], 0 idxen             // 000000008788: E0502000 80052BFF
	v_mfma_f32_16x16x16_bf16 v[132:135], v[54:55], a[62:63], v[132:135]// 000000008790: D3E10084 16127D36
	v_mov_b32_dpp v125, v124 quad_perm:[1,1,1,1] row_mask:0xf bank_mask:0xf// 000000008798: 7EFA02FA FF00557C
	v_mov_b32_dpp v124, v124 quad_perm:[0,0,0,0] row_mask:0xf bank_mask:0xf// 0000000087A0: 7EF802FA FF00007C
	s_add_u32 s60, 64, s59                                     // 0000000087A8: 803C3BC0
	v_mfma_f32_16x16x16_bf16 v[132:135], v[56:57], a[66:67], v[132:135]// 0000000087AC: D3E10084 16128538
	buffer_load_dword v9, s[24:27], 0 idxen lds                // 0000000087B4: E0512000 80060009
	v_mfma_f32_16x16x16_bf16 v[132:135], v[58:59], a[70:71], v[132:135]// 0000000087BC: D3E10084 16128D3A
	s_cmp_lt_u32 s60, s58                                      // 0000000087C4: BF0A3A3C
	s_cselect_b32 s68, s68, 0                                  // 0000000087C8: 85448044
	s_cselect_b32 s101, s101, 0                                // 0000000087CC: 85658065
	s_cselect_b32 s69, s69, 0                                  // 0000000087D0: 85458045
	v_mfma_f32_16x16x16_bf16 v[132:135], v[60:61], a[74:75], v[132:135]// 0000000087D4: D3E10084 1612953C
	v_add_u32_e32 v1, s68, v1                                  // 0000000087DC: 68020244
	v_add_u32_e32 v2, s68, v2                                  // 0000000087E0: 68040444
	v_add_u32_e32 v3, s68, v3                                  // 0000000087E4: 68060644
	v_add_u32_e32 v4, s68, v4                                  // 0000000087E8: 68080844
	v_mfma_f32_16x16x16_bf16 v[132:135], v[62:63], a[78:79], v[132:135]// 0000000087EC: D3E10084 16129D3E
	v_add_u32_e32 v252, s101, v252                             // 0000000087F4: 69F9F865
	v_add_u32_e32 v253, s101, v253                             // 0000000087F8: 69FBFA65
	v_add_u32_e32 v254, s101, v254                             // 0000000087FC: 69FDFC65
	v_add_u32_e32 v255, s101, v255                             // 000000008800: 69FFFE65
	v_mfma_f32_16x16x16_bf16 v[132:135], v[64:65], a[82:83], v[132:135]// 000000008804: D3E10084 1612A540
	s_mov_b32 m0, s77                                          // 00000000880C: BEFC004D
	v_add_u32_e32 v9, s69, v9                                  // 000000008810: 68121245
	v_mfma_f32_16x16x16_bf16 v[132:135], v[66:67], a[86:87], v[132:135]// 000000008814: D3E10084 1612AD42
	s_cmp_ge_u32 s59, 16                                       // 00000000881C: BF09903B
	s_cselect_b32 s66, s67, s66                                // 000000008820: 85424243
	v_mfma_f32_16x16x16_bf16 v[132:135], v[68:69], a[90:91], v[132:135]// 000000008824: D3E10084 1612B544
	s_addk_i32 s59, 0x10                                       // 00000000882C: B73B0010
	s_nop 0                                                    // 000000008830: BF800000
	s_cmp_lt_i32 s59, s58                                      // 000000008834: BF043A3B
	v_mfma_f32_16x16x16_bf16 v[132:135], v[70:71], a[94:95], v[132:135]// 000000008838: D3E10084 1612BD46
	s_cbranch_scc0 label_0D7E                                  // 000000008840: BF84FAE3
	s_branch label_0D81                                        // 000000008844: BF82FAE5

0000000000008848 <label_12A6>:
	buffer_atomic_add_f32 v140, v7, s[32:35], 0 offen offset:256// 000000008848: E1341100 80088C07
	buffer_atomic_add_f32 v141, v8, s[32:35], 0 offen offset:256// 000000008850: E1341100 80088D08
	buffer_atomic_add_f32 v142, v7, s[32:35], 0 offen offset:384// 000000008858: E1341180 80088E07
	buffer_atomic_add_f32 v143, v8, s[32:35], 0 offen offset:384// 000000008860: E1341180 80088F08
	v_add_u32_e32 v7, s66, v7                                  // 000000008868: 680E0E42
	v_add_u32_e32 v8, s66, v8                                  // 00000000886C: 68101042
	v_lshrrev_b32_e32 v28, 5, v0                               // 000000008870: 20380085
	v_mul_i32_i24_e32 v25, 0x42, v28                           // 000000008874: 0C3238FF 00000042
	v_and_b32_e32 v28, 31, v0                                  // 00000000887C: 2638009F
	v_mul_i32_i24_e32 v29, 2, v28                              // 000000008880: 0C3A3882
	v_add_u32_e32 v25, v29, v25                                // 000000008884: 6832331D
	s_mul_i32 s60, s46, 0x420                                  // 000000008888: 923CFF2E 00000420
	v_add_u32_e32 v25, s60, v25                                // 000000008890: 6832323C
	v_lshlrev_b32_e32 v25, 2, v25                              // 000000008894: 24323282
	v_mul_f32_e32 v128, s47, v128                              // 000000008898: 0B01002F
	v_mul_f32_e32 v129, s47, v129                              // 00000000889C: 0B03022F
	v_mul_f32_e32 v130, s47, v130                              // 0000000088A0: 0B05042F
	v_mul_f32_e32 v131, s47, v131                              // 0000000088A4: 0B07062F
	v_mul_f32_e32 v132, s47, v132                              // 0000000088A8: 0B09082F
	v_mul_f32_e32 v133, s47, v133                              // 0000000088AC: 0B0B0A2F
	v_mul_f32_e32 v134, s47, v134                              // 0000000088B0: 0B0D0C2F
	v_mul_f32_e32 v135, s47, v135                              // 0000000088B4: 0B0F0E2F
	ds_write_b64 v20, v[128:129] offset:24320                  // 0000000088B8: D89A5F00 00008014
	ds_write_b64 v20, v[130:131] offset:24832                  // 0000000088C0: D89A6100 00008214
	ds_write_b64 v20, v[132:133] offset:25344                  // 0000000088C8: D89A6300 00008414
	ds_write_b64 v20, v[134:135] offset:25856                  // 0000000088D0: D89A6500 00008614
	s_waitcnt lgkmcnt(0)                                       // 0000000088D8: BF8CC07F
	s_barrier                                                  // 0000000088DC: BF8A0000
	ds_read_b64 v[136:137], v19 offset:24320                   // 0000000088E0: D8EC5F00 88000013
	ds_read_b64 v[138:139], v19 offset:26368                   // 0000000088E8: D8EC6700 8A000013
	ds_read_b64 v[140:141], v19 offset:28416                   // 0000000088F0: D8EC6F00 8C000013
	ds_read_b64 v[142:143], v19 offset:30464                   // 0000000088F8: D8EC7700 8E000013
	s_waitcnt lgkmcnt(0)                                       // 000000008900: BF8CC07F
	s_barrier                                                  // 000000008904: BF8A0000
	buffer_atomic_add_f32 v136, v7, s[32:35], 0 offen          // 000000008908: E1341000 80088807
	buffer_atomic_add_f32 v137, v8, s[32:35], 0 offen          // 000000008910: E1341000 80088908
	buffer_atomic_add_f32 v138, v7, s[32:35], 0 offen offset:128// 000000008918: E1341080 80088A07
	buffer_atomic_add_f32 v139, v8, s[32:35], 0 offen offset:128// 000000008920: E1341080 80088B08
	buffer_atomic_add_f32 v140, v7, s[32:35], 0 offen offset:256// 000000008928: E1341100 80088C07
	buffer_atomic_add_f32 v141, v8, s[32:35], 0 offen offset:256// 000000008930: E1341100 80088D08
	buffer_atomic_add_f32 v142, v7, s[32:35], 0 offen offset:384// 000000008938: E1341180 80088E07
	buffer_atomic_add_f32 v143, v8, s[32:35], 0 offen offset:384// 000000008940: E1341180 80088F08
	v_lshrrev_b32_e32 v28, 4, v0                               // 000000008948: 20380084
	v_mul_i32_i24_e32 v24, 2, v28                              // 00000000894C: 0C303882
	v_and_b32_e32 v28, 15, v0                                  // 000000008950: 2638008F
	v_mul_i32_i24_e32 v29, 0x42, v28                           // 000000008954: 0C3A38FF 00000042
	v_add_u32_e32 v24, v29, v24                                // 00000000895C: 6830311D
	s_mul_i32 s60, s46, 0x420                                  // 000000008960: 923CFF2E 00000420
	v_add_u32_e32 v24, s60, v24                                // 000000008968: 6830303C
	v_lshlrev_b32_e32 v24, 2, v24                              // 00000000896C: 24303082
	v_accvgpr_read_b32 v30, a160                               // 000000008970: D3D8401E 180001A0
	v_accvgpr_read_b32 v31, a161                               // 000000008978: D3D8401F 180001A1
	v_mul_f32_e32 v30, s47, v30                                // 000000008980: 0A3C3C2F
	v_mul_f32_e32 v31, s47, v31                                // 000000008984: 0A3E3E2F
	v_cmp_u_f32_e64 s[74:75], v30, v30                         // 000000008988: D048004A 00023D1E
	v_bfe_u32 v248, v30, 16, 1                                 // 000000008990: D1C800F8 0205211E
	v_add3_u32 v248, v30, v248, v251                           // 000000008998: D1FF00F8 07EFF11E
	v_cndmask_b32_e64 v28, v248, v250, s[74:75]                // 0000000089A0: D100001C 012BF5F8
	v_lshrrev_b32_e32 v28, 16, v28                             // 0000000089A8: 20383890
	v_cmp_u_f32_e64 s[74:75], v31, v31                         // 0000000089AC: D048004A 00023F1F
	v_bfe_u32 v248, v31, 16, 1                                 // 0000000089B4: D1C800F8 0205211F
	v_add3_u32 v248, v31, v248, v251                           // 0000000089BC: D1FF00F8 07EFF11F
	v_cndmask_b32_e64 v29, v248, v250, s[74:75]                // 0000000089C4: D100001D 012BF5F8
	v_and_or_b32 v48, v29, v249, v28                           // 0000000089CC: D2010030 0473F31D
	v_accvgpr_read_b32 v30, a162                               // 0000000089D4: D3D8401E 180001A2
	v_accvgpr_read_b32 v31, a163                               // 0000000089DC: D3D8401F 180001A3
	v_mul_f32_e32 v30, s47, v30                                // 0000000089E4: 0A3C3C2F
	v_mul_f32_e32 v31, s47, v31                                // 0000000089E8: 0A3E3E2F
	v_cmp_u_f32_e64 s[74:75], v30, v30                         // 0000000089EC: D048004A 00023D1E
	v_bfe_u32 v248, v30, 16, 1                                 // 0000000089F4: D1C800F8 0205211E
	v_add3_u32 v248, v30, v248, v251                           // 0000000089FC: D1FF00F8 07EFF11E
	v_cndmask_b32_e64 v28, v248, v250, s[74:75]                // 000000008A04: D100001C 012BF5F8
	v_lshrrev_b32_e32 v28, 16, v28                             // 000000008A0C: 20383890
	v_cmp_u_f32_e64 s[74:75], v31, v31                         // 000000008A10: D048004A 00023F1F
	v_bfe_u32 v248, v31, 16, 1                                 // 000000008A18: D1C800F8 0205211F
	v_add3_u32 v248, v31, v248, v251                           // 000000008A20: D1FF00F8 07EFF11F
	v_cndmask_b32_e64 v29, v248, v250, s[74:75]                // 000000008A28: D100001D 012BF5F8
	v_and_or_b32 v49, v29, v249, v28                           // 000000008A30: D2010031 0473F31D
	v_accvgpr_read_b32 v30, a164                               // 000000008A38: D3D8401E 180001A4
	v_accvgpr_read_b32 v31, a165                               // 000000008A40: D3D8401F 180001A5
	v_mul_f32_e32 v30, s47, v30                                // 000000008A48: 0A3C3C2F
	v_mul_f32_e32 v31, s47, v31                                // 000000008A4C: 0A3E3E2F
	v_cmp_u_f32_e64 s[74:75], v30, v30                         // 000000008A50: D048004A 00023D1E
	v_bfe_u32 v248, v30, 16, 1                                 // 000000008A58: D1C800F8 0205211E
	v_add3_u32 v248, v30, v248, v251                           // 000000008A60: D1FF00F8 07EFF11E
	v_cndmask_b32_e64 v28, v248, v250, s[74:75]                // 000000008A68: D100001C 012BF5F8
	v_lshrrev_b32_e32 v28, 16, v28                             // 000000008A70: 20383890
	v_cmp_u_f32_e64 s[74:75], v31, v31                         // 000000008A74: D048004A 00023F1F
	v_bfe_u32 v248, v31, 16, 1                                 // 000000008A7C: D1C800F8 0205211F
	v_add3_u32 v248, v31, v248, v251                           // 000000008A84: D1FF00F8 07EFF11F
	v_cndmask_b32_e64 v29, v248, v250, s[74:75]                // 000000008A8C: D100001D 012BF5F8
	v_and_or_b32 v50, v29, v249, v28                           // 000000008A94: D2010032 0473F31D
	v_accvgpr_read_b32 v30, a166                               // 000000008A9C: D3D8401E 180001A6
	v_accvgpr_read_b32 v31, a167                               // 000000008AA4: D3D8401F 180001A7
	v_mul_f32_e32 v30, s47, v30                                // 000000008AAC: 0A3C3C2F
	v_mul_f32_e32 v31, s47, v31                                // 000000008AB0: 0A3E3E2F
	v_cmp_u_f32_e64 s[74:75], v30, v30                         // 000000008AB4: D048004A 00023D1E
	v_bfe_u32 v248, v30, 16, 1                                 // 000000008ABC: D1C800F8 0205211E
	v_add3_u32 v248, v30, v248, v251                           // 000000008AC4: D1FF00F8 07EFF11E
	v_cndmask_b32_e64 v28, v248, v250, s[74:75]                // 000000008ACC: D100001C 012BF5F8
	v_lshrrev_b32_e32 v28, 16, v28                             // 000000008AD4: 20383890
	v_cmp_u_f32_e64 s[74:75], v31, v31                         // 000000008AD8: D048004A 00023F1F
	v_bfe_u32 v248, v31, 16, 1                                 // 000000008AE0: D1C800F8 0205211F
	v_add3_u32 v248, v31, v248, v251                           // 000000008AE8: D1FF00F8 07EFF11F
	v_cndmask_b32_e64 v29, v248, v250, s[74:75]                // 000000008AF0: D100001D 012BF5F8
	v_and_or_b32 v51, v29, v249, v28                           // 000000008AF8: D2010033 0473F31D
	v_accvgpr_read_b32 v30, a168                               // 000000008B00: D3D8401E 180001A8
	v_accvgpr_read_b32 v31, a169                               // 000000008B08: D3D8401F 180001A9
	v_mul_f32_e32 v30, s47, v30                                // 000000008B10: 0A3C3C2F
	v_mul_f32_e32 v31, s47, v31                                // 000000008B14: 0A3E3E2F
	v_cmp_u_f32_e64 s[74:75], v30, v30                         // 000000008B18: D048004A 00023D1E
	v_bfe_u32 v248, v30, 16, 1                                 // 000000008B20: D1C800F8 0205211E
	v_add3_u32 v248, v30, v248, v251                           // 000000008B28: D1FF00F8 07EFF11E
	v_cndmask_b32_e64 v28, v248, v250, s[74:75]                // 000000008B30: D100001C 012BF5F8
	v_lshrrev_b32_e32 v28, 16, v28                             // 000000008B38: 20383890
	v_cmp_u_f32_e64 s[74:75], v31, v31                         // 000000008B3C: D048004A 00023F1F
	v_bfe_u32 v248, v31, 16, 1                                 // 000000008B44: D1C800F8 0205211F
	v_add3_u32 v248, v31, v248, v251                           // 000000008B4C: D1FF00F8 07EFF11F
	v_cndmask_b32_e64 v29, v248, v250, s[74:75]                // 000000008B54: D100001D 012BF5F8
	v_and_or_b32 v52, v29, v249, v28                           // 000000008B5C: D2010034 0473F31D
	v_accvgpr_read_b32 v30, a170                               // 000000008B64: D3D8401E 180001AA
	v_accvgpr_read_b32 v31, a171                               // 000000008B6C: D3D8401F 180001AB
	v_mul_f32_e32 v30, s47, v30                                // 000000008B74: 0A3C3C2F
	v_mul_f32_e32 v31, s47, v31                                // 000000008B78: 0A3E3E2F
	v_cmp_u_f32_e64 s[74:75], v30, v30                         // 000000008B7C: D048004A 00023D1E
	v_bfe_u32 v248, v30, 16, 1                                 // 000000008B84: D1C800F8 0205211E
	v_add3_u32 v248, v30, v248, v251                           // 000000008B8C: D1FF00F8 07EFF11E
	v_cndmask_b32_e64 v28, v248, v250, s[74:75]                // 000000008B94: D100001C 012BF5F8
	v_lshrrev_b32_e32 v28, 16, v28                             // 000000008B9C: 20383890
	v_cmp_u_f32_e64 s[74:75], v31, v31                         // 000000008BA0: D048004A 00023F1F
	v_bfe_u32 v248, v31, 16, 1                                 // 000000008BA8: D1C800F8 0205211F
	v_add3_u32 v248, v31, v248, v251                           // 000000008BB0: D1FF00F8 07EFF11F
	v_cndmask_b32_e64 v29, v248, v250, s[74:75]                // 000000008BB8: D100001D 012BF5F8
	v_and_or_b32 v53, v29, v249, v28                           // 000000008BC0: D2010035 0473F31D
	v_accvgpr_read_b32 v30, a172                               // 000000008BC8: D3D8401E 180001AC
	v_accvgpr_read_b32 v31, a173                               // 000000008BD0: D3D8401F 180001AD
	v_mul_f32_e32 v30, s47, v30                                // 000000008BD8: 0A3C3C2F
	v_mul_f32_e32 v31, s47, v31                                // 000000008BDC: 0A3E3E2F
	v_cmp_u_f32_e64 s[74:75], v30, v30                         // 000000008BE0: D048004A 00023D1E
	v_bfe_u32 v248, v30, 16, 1                                 // 000000008BE8: D1C800F8 0205211E
	v_add3_u32 v248, v30, v248, v251                           // 000000008BF0: D1FF00F8 07EFF11E
	v_cndmask_b32_e64 v28, v248, v250, s[74:75]                // 000000008BF8: D100001C 012BF5F8
	v_lshrrev_b32_e32 v28, 16, v28                             // 000000008C00: 20383890
	v_cmp_u_f32_e64 s[74:75], v31, v31                         // 000000008C04: D048004A 00023F1F
	v_bfe_u32 v248, v31, 16, 1                                 // 000000008C0C: D1C800F8 0205211F
	v_add3_u32 v248, v31, v248, v251                           // 000000008C14: D1FF00F8 07EFF11F
	v_cndmask_b32_e64 v29, v248, v250, s[74:75]                // 000000008C1C: D100001D 012BF5F8
	v_and_or_b32 v54, v29, v249, v28                           // 000000008C24: D2010036 0473F31D
	v_accvgpr_read_b32 v30, a174                               // 000000008C2C: D3D8401E 180001AE
	v_accvgpr_read_b32 v31, a175                               // 000000008C34: D3D8401F 180001AF
	v_mul_f32_e32 v30, s47, v30                                // 000000008C3C: 0A3C3C2F
	v_mul_f32_e32 v31, s47, v31                                // 000000008C40: 0A3E3E2F
	v_cmp_u_f32_e64 s[74:75], v30, v30                         // 000000008C44: D048004A 00023D1E
	v_bfe_u32 v248, v30, 16, 1                                 // 000000008C4C: D1C800F8 0205211E
	v_add3_u32 v248, v30, v248, v251                           // 000000008C54: D1FF00F8 07EFF11E
	v_cndmask_b32_e64 v28, v248, v250, s[74:75]                // 000000008C5C: D100001C 012BF5F8
	v_lshrrev_b32_e32 v28, 16, v28                             // 000000008C64: 20383890
	v_cmp_u_f32_e64 s[74:75], v31, v31                         // 000000008C68: D048004A 00023F1F
	v_bfe_u32 v248, v31, 16, 1                                 // 000000008C70: D1C800F8 0205211F
	v_add3_u32 v248, v31, v248, v251                           // 000000008C78: D1FF00F8 07EFF11F
	v_cndmask_b32_e64 v29, v248, v250, s[74:75]                // 000000008C80: D100001D 012BF5F8
	v_and_or_b32 v55, v29, v249, v28                           // 000000008C88: D2010037 0473F31D
	v_accvgpr_read_b32 v30, a176                               // 000000008C90: D3D8401E 180001B0
	v_accvgpr_read_b32 v31, a177                               // 000000008C98: D3D8401F 180001B1
	v_mul_f32_e32 v30, s47, v30                                // 000000008CA0: 0A3C3C2F
	v_mul_f32_e32 v31, s47, v31                                // 000000008CA4: 0A3E3E2F
	v_cmp_u_f32_e64 s[74:75], v30, v30                         // 000000008CA8: D048004A 00023D1E
	v_bfe_u32 v248, v30, 16, 1                                 // 000000008CB0: D1C800F8 0205211E
	v_add3_u32 v248, v30, v248, v251                           // 000000008CB8: D1FF00F8 07EFF11E
	v_cndmask_b32_e64 v28, v248, v250, s[74:75]                // 000000008CC0: D100001C 012BF5F8
	v_lshrrev_b32_e32 v28, 16, v28                             // 000000008CC8: 20383890
	v_cmp_u_f32_e64 s[74:75], v31, v31                         // 000000008CCC: D048004A 00023F1F
	v_bfe_u32 v248, v31, 16, 1                                 // 000000008CD4: D1C800F8 0205211F
	v_add3_u32 v248, v31, v248, v251                           // 000000008CDC: D1FF00F8 07EFF11F
	v_cndmask_b32_e64 v29, v248, v250, s[74:75]                // 000000008CE4: D100001D 012BF5F8
	v_and_or_b32 v56, v29, v249, v28                           // 000000008CEC: D2010038 0473F31D
	v_accvgpr_read_b32 v30, a178                               // 000000008CF4: D3D8401E 180001B2
	v_accvgpr_read_b32 v31, a179                               // 000000008CFC: D3D8401F 180001B3
	v_mul_f32_e32 v30, s47, v30                                // 000000008D04: 0A3C3C2F
	v_mul_f32_e32 v31, s47, v31                                // 000000008D08: 0A3E3E2F
	v_cmp_u_f32_e64 s[74:75], v30, v30                         // 000000008D0C: D048004A 00023D1E
	v_bfe_u32 v248, v30, 16, 1                                 // 000000008D14: D1C800F8 0205211E
	v_add3_u32 v248, v30, v248, v251                           // 000000008D1C: D1FF00F8 07EFF11E
	v_cndmask_b32_e64 v28, v248, v250, s[74:75]                // 000000008D24: D100001C 012BF5F8
	v_lshrrev_b32_e32 v28, 16, v28                             // 000000008D2C: 20383890
	v_cmp_u_f32_e64 s[74:75], v31, v31                         // 000000008D30: D048004A 00023F1F
	v_bfe_u32 v248, v31, 16, 1                                 // 000000008D38: D1C800F8 0205211F
	v_add3_u32 v248, v31, v248, v251                           // 000000008D40: D1FF00F8 07EFF11F
	v_cndmask_b32_e64 v29, v248, v250, s[74:75]                // 000000008D48: D100001D 012BF5F8
	v_and_or_b32 v57, v29, v249, v28                           // 000000008D50: D2010039 0473F31D
	v_accvgpr_read_b32 v30, a180                               // 000000008D58: D3D8401E 180001B4
	v_accvgpr_read_b32 v31, a181                               // 000000008D60: D3D8401F 180001B5
	v_mul_f32_e32 v30, s47, v30                                // 000000008D68: 0A3C3C2F
	v_mul_f32_e32 v31, s47, v31                                // 000000008D6C: 0A3E3E2F
	v_cmp_u_f32_e64 s[74:75], v30, v30                         // 000000008D70: D048004A 00023D1E
	v_bfe_u32 v248, v30, 16, 1                                 // 000000008D78: D1C800F8 0205211E
	v_add3_u32 v248, v30, v248, v251                           // 000000008D80: D1FF00F8 07EFF11E
	v_cndmask_b32_e64 v28, v248, v250, s[74:75]                // 000000008D88: D100001C 012BF5F8
	v_lshrrev_b32_e32 v28, 16, v28                             // 000000008D90: 20383890
	v_cmp_u_f32_e64 s[74:75], v31, v31                         // 000000008D94: D048004A 00023F1F
	v_bfe_u32 v248, v31, 16, 1                                 // 000000008D9C: D1C800F8 0205211F
	v_add3_u32 v248, v31, v248, v251                           // 000000008DA4: D1FF00F8 07EFF11F
	v_cndmask_b32_e64 v29, v248, v250, s[74:75]                // 000000008DAC: D100001D 012BF5F8
	v_and_or_b32 v58, v29, v249, v28                           // 000000008DB4: D201003A 0473F31D
	v_accvgpr_read_b32 v30, a182                               // 000000008DBC: D3D8401E 180001B6
	v_accvgpr_read_b32 v31, a183                               // 000000008DC4: D3D8401F 180001B7
	v_mul_f32_e32 v30, s47, v30                                // 000000008DCC: 0A3C3C2F
	v_mul_f32_e32 v31, s47, v31                                // 000000008DD0: 0A3E3E2F
	v_cmp_u_f32_e64 s[74:75], v30, v30                         // 000000008DD4: D048004A 00023D1E
	v_bfe_u32 v248, v30, 16, 1                                 // 000000008DDC: D1C800F8 0205211E
	v_add3_u32 v248, v30, v248, v251                           // 000000008DE4: D1FF00F8 07EFF11E
	v_cndmask_b32_e64 v28, v248, v250, s[74:75]                // 000000008DEC: D100001C 012BF5F8
	v_lshrrev_b32_e32 v28, 16, v28                             // 000000008DF4: 20383890
	v_cmp_u_f32_e64 s[74:75], v31, v31                         // 000000008DF8: D048004A 00023F1F
	v_bfe_u32 v248, v31, 16, 1                                 // 000000008E00: D1C800F8 0205211F
	v_add3_u32 v248, v31, v248, v251                           // 000000008E08: D1FF00F8 07EFF11F
	v_cndmask_b32_e64 v29, v248, v250, s[74:75]                // 000000008E10: D100001D 012BF5F8
	v_and_or_b32 v59, v29, v249, v28                           // 000000008E18: D201003B 0473F31D
	v_accvgpr_read_b32 v30, a184                               // 000000008E20: D3D8401E 180001B8
	v_accvgpr_read_b32 v31, a185                               // 000000008E28: D3D8401F 180001B9
	v_mul_f32_e32 v30, s47, v30                                // 000000008E30: 0A3C3C2F
	v_mul_f32_e32 v31, s47, v31                                // 000000008E34: 0A3E3E2F
	v_cmp_u_f32_e64 s[74:75], v30, v30                         // 000000008E38: D048004A 00023D1E
	v_bfe_u32 v248, v30, 16, 1                                 // 000000008E40: D1C800F8 0205211E
	v_add3_u32 v248, v30, v248, v251                           // 000000008E48: D1FF00F8 07EFF11E
	v_cndmask_b32_e64 v28, v248, v250, s[74:75]                // 000000008E50: D100001C 012BF5F8
	v_lshrrev_b32_e32 v28, 16, v28                             // 000000008E58: 20383890
	v_cmp_u_f32_e64 s[74:75], v31, v31                         // 000000008E5C: D048004A 00023F1F
	v_bfe_u32 v248, v31, 16, 1                                 // 000000008E64: D1C800F8 0205211F
	v_add3_u32 v248, v31, v248, v251                           // 000000008E6C: D1FF00F8 07EFF11F
	v_cndmask_b32_e64 v29, v248, v250, s[74:75]                // 000000008E74: D100001D 012BF5F8
	v_and_or_b32 v60, v29, v249, v28                           // 000000008E7C: D201003C 0473F31D
	v_accvgpr_read_b32 v30, a186                               // 000000008E84: D3D8401E 180001BA
	v_accvgpr_read_b32 v31, a187                               // 000000008E8C: D3D8401F 180001BB
	v_mul_f32_e32 v30, s47, v30                                // 000000008E94: 0A3C3C2F
	v_mul_f32_e32 v31, s47, v31                                // 000000008E98: 0A3E3E2F
	v_cmp_u_f32_e64 s[74:75], v30, v30                         // 000000008E9C: D048004A 00023D1E
	v_bfe_u32 v248, v30, 16, 1                                 // 000000008EA4: D1C800F8 0205211E
	v_add3_u32 v248, v30, v248, v251                           // 000000008EAC: D1FF00F8 07EFF11E
	v_cndmask_b32_e64 v28, v248, v250, s[74:75]                // 000000008EB4: D100001C 012BF5F8
	v_lshrrev_b32_e32 v28, 16, v28                             // 000000008EBC: 20383890
	v_cmp_u_f32_e64 s[74:75], v31, v31                         // 000000008EC0: D048004A 00023F1F
	v_bfe_u32 v248, v31, 16, 1                                 // 000000008EC8: D1C800F8 0205211F
	v_add3_u32 v248, v31, v248, v251                           // 000000008ED0: D1FF00F8 07EFF11F
	v_cndmask_b32_e64 v29, v248, v250, s[74:75]                // 000000008ED8: D100001D 012BF5F8
	v_and_or_b32 v61, v29, v249, v28                           // 000000008EE0: D201003D 0473F31D
	v_accvgpr_read_b32 v30, a188                               // 000000008EE8: D3D8401E 180001BC
	v_accvgpr_read_b32 v31, a189                               // 000000008EF0: D3D8401F 180001BD
	v_mul_f32_e32 v30, s47, v30                                // 000000008EF8: 0A3C3C2F
	v_mul_f32_e32 v31, s47, v31                                // 000000008EFC: 0A3E3E2F
	v_cmp_u_f32_e64 s[74:75], v30, v30                         // 000000008F00: D048004A 00023D1E
	v_bfe_u32 v248, v30, 16, 1                                 // 000000008F08: D1C800F8 0205211E
	v_add3_u32 v248, v30, v248, v251                           // 000000008F10: D1FF00F8 07EFF11E
	v_cndmask_b32_e64 v28, v248, v250, s[74:75]                // 000000008F18: D100001C 012BF5F8
	v_lshrrev_b32_e32 v28, 16, v28                             // 000000008F20: 20383890
	v_cmp_u_f32_e64 s[74:75], v31, v31                         // 000000008F24: D048004A 00023F1F
	v_bfe_u32 v248, v31, 16, 1                                 // 000000008F2C: D1C800F8 0205211F
	v_add3_u32 v248, v31, v248, v251                           // 000000008F34: D1FF00F8 07EFF11F
	v_cndmask_b32_e64 v29, v248, v250, s[74:75]                // 000000008F3C: D100001D 012BF5F8
	v_and_or_b32 v62, v29, v249, v28                           // 000000008F44: D201003E 0473F31D
	v_accvgpr_read_b32 v30, a190                               // 000000008F4C: D3D8401E 180001BE
	v_accvgpr_read_b32 v31, a191                               // 000000008F54: D3D8401F 180001BF
	v_mul_f32_e32 v30, s47, v30                                // 000000008F5C: 0A3C3C2F
	v_mul_f32_e32 v31, s47, v31                                // 000000008F60: 0A3E3E2F
	v_cmp_u_f32_e64 s[74:75], v30, v30                         // 000000008F64: D048004A 00023D1E
	v_bfe_u32 v248, v30, 16, 1                                 // 000000008F6C: D1C800F8 0205211E
	v_add3_u32 v248, v30, v248, v251                           // 000000008F74: D1FF00F8 07EFF11E
	v_cndmask_b32_e64 v28, v248, v250, s[74:75]                // 000000008F7C: D100001C 012BF5F8
	v_lshrrev_b32_e32 v28, 16, v28                             // 000000008F84: 20383890
	v_cmp_u_f32_e64 s[74:75], v31, v31                         // 000000008F88: D048004A 00023F1F
	v_bfe_u32 v248, v31, 16, 1                                 // 000000008F90: D1C800F8 0205211F
	v_add3_u32 v248, v31, v248, v251                           // 000000008F98: D1FF00F8 07EFF11F
	v_cndmask_b32_e64 v29, v248, v250, s[74:75]                // 000000008FA0: D100001D 012BF5F8
	v_and_or_b32 v63, v29, v249, v28                           // 000000008FA8: D201003F 0473F31D
	ds_write_b64 v25, v[48:49]                                 // 000000008FB0: D89A0000 00003019
	ds_write_b64 v25, v[50:51] offset:528                      // 000000008FB8: D89A0210 00003219
	ds_write_b64 v25, v[52:53] offset:1056                     // 000000008FC0: D89A0420 00003419
	ds_write_b64 v25, v[54:55] offset:1584                     // 000000008FC8: D89A0630 00003619
	ds_write_b64 v25, v[56:57] offset:2112                     // 000000008FD0: D89A0840 00003819
	ds_write_b64 v25, v[58:59] offset:2640                     // 000000008FD8: D89A0A50 00003A19
	ds_write_b64 v25, v[60:61] offset:3168                     // 000000008FE0: D89A0C60 00003C19
	ds_write_b64 v25, v[62:63] offset:3696                     // 000000008FE8: D89A0E70 00003E19
	s_waitcnt lgkmcnt(0)                                       // 000000008FF0: BF8CC07F
	s_barrier                                                  // 000000008FF4: BF8A0000
	ds_read_b64 v[48:49], v24                                  // 000000008FF8: D8EC0000 30000018
	ds_read_b64 v[50:51], v24 offset:128                       // 000000009000: D8EC0080 32000018
	ds_read_b64 v[52:53], v24 offset:32                        // 000000009008: D8EC0020 34000018
	ds_read_b64 v[54:55], v24 offset:160                       // 000000009010: D8EC00A0 36000018
	ds_read_b64 v[56:57], v24 offset:64                        // 000000009018: D8EC0040 38000018
	ds_read_b64 v[58:59], v24 offset:192                       // 000000009020: D8EC00C0 3A000018
	ds_read_b64 v[60:61], v24 offset:96                        // 000000009028: D8EC0060 3C000018
	ds_read_b64 v[62:63], v24 offset:224                       // 000000009030: D8EC00E0 3E000018
	s_waitcnt lgkmcnt(0)                                       // 000000009038: BF8CC07F
	s_mov_b32 s70, s52                                         // 00000000903C: BEC60034
	buffer_store_dwordx4 v[48:51], v5, s[36:39], 0 idxen       // 000000009040: E07C2000 80093005
	v_add_u32_e32 v5, s70, v5                                  // 000000009048: 680A0A46
	buffer_store_dwordx4 v[52:55], v5, s[36:39], 0 idxen       // 00000000904C: E07C2000 80093405
	v_add_u32_e32 v5, s70, v5                                  // 000000009054: 680A0A46
	buffer_store_dwordx4 v[56:59], v5, s[36:39], 0 idxen       // 000000009058: E07C2000 80093805
	v_add_u32_e32 v5, s70, v5                                  // 000000009060: 680A0A46
	buffer_store_dwordx4 v[60:63], v5, s[36:39], 0 idxen       // 000000009064: E07C2000 80093C05
	v_add_u32_e32 v5, s70, v5                                  // 00000000906C: 680A0A46
	s_mul_i32 s60, 12, s70                                     // 000000009070: 923C468C
	v_add_u32_e32 v5, s60, v5                                  // 000000009074: 680A0A3C
	s_barrier                                                  // 000000009078: BF8A0000
	s_cmp_ge_i32 1, s73                                        // 00000000907C: BF034981
	s_cbranch_scc1 label_183F                                  // 000000009080: BF85038A
	v_accvgpr_read_b32 v30, a192                               // 000000009084: D3D8401E 180001C0
	v_accvgpr_read_b32 v31, a193                               // 00000000908C: D3D8401F 180001C1
	v_mul_f32_e32 v30, s47, v30                                // 000000009094: 0A3C3C2F
	v_mul_f32_e32 v31, s47, v31                                // 000000009098: 0A3E3E2F
	v_cmp_u_f32_e64 s[74:75], v30, v30                         // 00000000909C: D048004A 00023D1E
	v_bfe_u32 v248, v30, 16, 1                                 // 0000000090A4: D1C800F8 0205211E
	v_add3_u32 v248, v30, v248, v251                           // 0000000090AC: D1FF00F8 07EFF11E
	v_cndmask_b32_e64 v28, v248, v250, s[74:75]                // 0000000090B4: D100001C 012BF5F8
	v_lshrrev_b32_e32 v28, 16, v28                             // 0000000090BC: 20383890
	v_cmp_u_f32_e64 s[74:75], v31, v31                         // 0000000090C0: D048004A 00023F1F
	v_bfe_u32 v248, v31, 16, 1                                 // 0000000090C8: D1C800F8 0205211F
	v_add3_u32 v248, v31, v248, v251                           // 0000000090D0: D1FF00F8 07EFF11F
	v_cndmask_b32_e64 v29, v248, v250, s[74:75]                // 0000000090D8: D100001D 012BF5F8
	v_and_or_b32 v64, v29, v249, v28                           // 0000000090E0: D2010040 0473F31D
	v_accvgpr_read_b32 v30, a194                               // 0000000090E8: D3D8401E 180001C2
	v_accvgpr_read_b32 v31, a195                               // 0000000090F0: D3D8401F 180001C3
	v_mul_f32_e32 v30, s47, v30                                // 0000000090F8: 0A3C3C2F
	v_mul_f32_e32 v31, s47, v31                                // 0000000090FC: 0A3E3E2F
	v_cmp_u_f32_e64 s[74:75], v30, v30                         // 000000009100: D048004A 00023D1E
	v_bfe_u32 v248, v30, 16, 1                                 // 000000009108: D1C800F8 0205211E
	v_add3_u32 v248, v30, v248, v251                           // 000000009110: D1FF00F8 07EFF11E
	v_cndmask_b32_e64 v28, v248, v250, s[74:75]                // 000000009118: D100001C 012BF5F8
	v_lshrrev_b32_e32 v28, 16, v28                             // 000000009120: 20383890
	v_cmp_u_f32_e64 s[74:75], v31, v31                         // 000000009124: D048004A 00023F1F
	v_bfe_u32 v248, v31, 16, 1                                 // 00000000912C: D1C800F8 0205211F
	v_add3_u32 v248, v31, v248, v251                           // 000000009134: D1FF00F8 07EFF11F
	v_cndmask_b32_e64 v29, v248, v250, s[74:75]                // 00000000913C: D100001D 012BF5F8
	v_and_or_b32 v65, v29, v249, v28                           // 000000009144: D2010041 0473F31D
	v_accvgpr_read_b32 v30, a196                               // 00000000914C: D3D8401E 180001C4
	v_accvgpr_read_b32 v31, a197                               // 000000009154: D3D8401F 180001C5
	v_mul_f32_e32 v30, s47, v30                                // 00000000915C: 0A3C3C2F
	v_mul_f32_e32 v31, s47, v31                                // 000000009160: 0A3E3E2F
	v_cmp_u_f32_e64 s[74:75], v30, v30                         // 000000009164: D048004A 00023D1E
	v_bfe_u32 v248, v30, 16, 1                                 // 00000000916C: D1C800F8 0205211E
	v_add3_u32 v248, v30, v248, v251                           // 000000009174: D1FF00F8 07EFF11E
	v_cndmask_b32_e64 v28, v248, v250, s[74:75]                // 00000000917C: D100001C 012BF5F8
	v_lshrrev_b32_e32 v28, 16, v28                             // 000000009184: 20383890
	v_cmp_u_f32_e64 s[74:75], v31, v31                         // 000000009188: D048004A 00023F1F
	v_bfe_u32 v248, v31, 16, 1                                 // 000000009190: D1C800F8 0205211F
	v_add3_u32 v248, v31, v248, v251                           // 000000009198: D1FF00F8 07EFF11F
	v_cndmask_b32_e64 v29, v248, v250, s[74:75]                // 0000000091A0: D100001D 012BF5F8
	v_and_or_b32 v66, v29, v249, v28                           // 0000000091A8: D2010042 0473F31D
	v_accvgpr_read_b32 v30, a198                               // 0000000091B0: D3D8401E 180001C6
	v_accvgpr_read_b32 v31, a199                               // 0000000091B8: D3D8401F 180001C7
	v_mul_f32_e32 v30, s47, v30                                // 0000000091C0: 0A3C3C2F
	v_mul_f32_e32 v31, s47, v31                                // 0000000091C4: 0A3E3E2F
	v_cmp_u_f32_e64 s[74:75], v30, v30                         // 0000000091C8: D048004A 00023D1E
	v_bfe_u32 v248, v30, 16, 1                                 // 0000000091D0: D1C800F8 0205211E
	v_add3_u32 v248, v30, v248, v251                           // 0000000091D8: D1FF00F8 07EFF11E
	v_cndmask_b32_e64 v28, v248, v250, s[74:75]                // 0000000091E0: D100001C 012BF5F8
	v_lshrrev_b32_e32 v28, 16, v28                             // 0000000091E8: 20383890
	v_cmp_u_f32_e64 s[74:75], v31, v31                         // 0000000091EC: D048004A 00023F1F
	v_bfe_u32 v248, v31, 16, 1                                 // 0000000091F4: D1C800F8 0205211F
	v_add3_u32 v248, v31, v248, v251                           // 0000000091FC: D1FF00F8 07EFF11F
	v_cndmask_b32_e64 v29, v248, v250, s[74:75]                // 000000009204: D100001D 012BF5F8
	v_and_or_b32 v67, v29, v249, v28                           // 00000000920C: D2010043 0473F31D
	v_accvgpr_read_b32 v30, a200                               // 000000009214: D3D8401E 180001C8
	v_accvgpr_read_b32 v31, a201                               // 00000000921C: D3D8401F 180001C9
	v_mul_f32_e32 v30, s47, v30                                // 000000009224: 0A3C3C2F
	v_mul_f32_e32 v31, s47, v31                                // 000000009228: 0A3E3E2F
	v_cmp_u_f32_e64 s[74:75], v30, v30                         // 00000000922C: D048004A 00023D1E
	v_bfe_u32 v248, v30, 16, 1                                 // 000000009234: D1C800F8 0205211E
	v_add3_u32 v248, v30, v248, v251                           // 00000000923C: D1FF00F8 07EFF11E
	v_cndmask_b32_e64 v28, v248, v250, s[74:75]                // 000000009244: D100001C 012BF5F8
	v_lshrrev_b32_e32 v28, 16, v28                             // 00000000924C: 20383890
	v_cmp_u_f32_e64 s[74:75], v31, v31                         // 000000009250: D048004A 00023F1F
	v_bfe_u32 v248, v31, 16, 1                                 // 000000009258: D1C800F8 0205211F
	v_add3_u32 v248, v31, v248, v251                           // 000000009260: D1FF00F8 07EFF11F
	v_cndmask_b32_e64 v29, v248, v250, s[74:75]                // 000000009268: D100001D 012BF5F8
	v_and_or_b32 v68, v29, v249, v28                           // 000000009270: D2010044 0473F31D
	v_accvgpr_read_b32 v30, a202                               // 000000009278: D3D8401E 180001CA
	v_accvgpr_read_b32 v31, a203                               // 000000009280: D3D8401F 180001CB
	v_mul_f32_e32 v30, s47, v30                                // 000000009288: 0A3C3C2F
	v_mul_f32_e32 v31, s47, v31                                // 00000000928C: 0A3E3E2F
	v_cmp_u_f32_e64 s[74:75], v30, v30                         // 000000009290: D048004A 00023D1E
	v_bfe_u32 v248, v30, 16, 1                                 // 000000009298: D1C800F8 0205211E
	v_add3_u32 v248, v30, v248, v251                           // 0000000092A0: D1FF00F8 07EFF11E
	v_cndmask_b32_e64 v28, v248, v250, s[74:75]                // 0000000092A8: D100001C 012BF5F8
	v_lshrrev_b32_e32 v28, 16, v28                             // 0000000092B0: 20383890
	v_cmp_u_f32_e64 s[74:75], v31, v31                         // 0000000092B4: D048004A 00023F1F
	v_bfe_u32 v248, v31, 16, 1                                 // 0000000092BC: D1C800F8 0205211F
	v_add3_u32 v248, v31, v248, v251                           // 0000000092C4: D1FF00F8 07EFF11F
	v_cndmask_b32_e64 v29, v248, v250, s[74:75]                // 0000000092CC: D100001D 012BF5F8
	v_and_or_b32 v69, v29, v249, v28                           // 0000000092D4: D2010045 0473F31D
	v_accvgpr_read_b32 v30, a204                               // 0000000092DC: D3D8401E 180001CC
	v_accvgpr_read_b32 v31, a205                               // 0000000092E4: D3D8401F 180001CD
	v_mul_f32_e32 v30, s47, v30                                // 0000000092EC: 0A3C3C2F
	v_mul_f32_e32 v31, s47, v31                                // 0000000092F0: 0A3E3E2F
	v_cmp_u_f32_e64 s[74:75], v30, v30                         // 0000000092F4: D048004A 00023D1E
	v_bfe_u32 v248, v30, 16, 1                                 // 0000000092FC: D1C800F8 0205211E
	v_add3_u32 v248, v30, v248, v251                           // 000000009304: D1FF00F8 07EFF11E
	v_cndmask_b32_e64 v28, v248, v250, s[74:75]                // 00000000930C: D100001C 012BF5F8
	v_lshrrev_b32_e32 v28, 16, v28                             // 000000009314: 20383890
	v_cmp_u_f32_e64 s[74:75], v31, v31                         // 000000009318: D048004A 00023F1F
	v_bfe_u32 v248, v31, 16, 1                                 // 000000009320: D1C800F8 0205211F
	v_add3_u32 v248, v31, v248, v251                           // 000000009328: D1FF00F8 07EFF11F
	v_cndmask_b32_e64 v29, v248, v250, s[74:75]                // 000000009330: D100001D 012BF5F8
	v_and_or_b32 v70, v29, v249, v28                           // 000000009338: D2010046 0473F31D
	v_accvgpr_read_b32 v30, a206                               // 000000009340: D3D8401E 180001CE
	v_accvgpr_read_b32 v31, a207                               // 000000009348: D3D8401F 180001CF
	v_mul_f32_e32 v30, s47, v30                                // 000000009350: 0A3C3C2F
	v_mul_f32_e32 v31, s47, v31                                // 000000009354: 0A3E3E2F
	v_cmp_u_f32_e64 s[74:75], v30, v30                         // 000000009358: D048004A 00023D1E
	v_bfe_u32 v248, v30, 16, 1                                 // 000000009360: D1C800F8 0205211E
	v_add3_u32 v248, v30, v248, v251                           // 000000009368: D1FF00F8 07EFF11E
	v_cndmask_b32_e64 v28, v248, v250, s[74:75]                // 000000009370: D100001C 012BF5F8
	v_lshrrev_b32_e32 v28, 16, v28                             // 000000009378: 20383890
	v_cmp_u_f32_e64 s[74:75], v31, v31                         // 00000000937C: D048004A 00023F1F
	v_bfe_u32 v248, v31, 16, 1                                 // 000000009384: D1C800F8 0205211F
	v_add3_u32 v248, v31, v248, v251                           // 00000000938C: D1FF00F8 07EFF11F
	v_cndmask_b32_e64 v29, v248, v250, s[74:75]                // 000000009394: D100001D 012BF5F8
	v_and_or_b32 v71, v29, v249, v28                           // 00000000939C: D2010047 0473F31D
	v_accvgpr_read_b32 v30, a208                               // 0000000093A4: D3D8401E 180001D0
	v_accvgpr_read_b32 v31, a209                               // 0000000093AC: D3D8401F 180001D1
	v_mul_f32_e32 v30, s47, v30                                // 0000000093B4: 0A3C3C2F
	v_mul_f32_e32 v31, s47, v31                                // 0000000093B8: 0A3E3E2F
	v_cmp_u_f32_e64 s[74:75], v30, v30                         // 0000000093BC: D048004A 00023D1E
	v_bfe_u32 v248, v30, 16, 1                                 // 0000000093C4: D1C800F8 0205211E
	v_add3_u32 v248, v30, v248, v251                           // 0000000093CC: D1FF00F8 07EFF11E
	v_cndmask_b32_e64 v28, v248, v250, s[74:75]                // 0000000093D4: D100001C 012BF5F8
	v_lshrrev_b32_e32 v28, 16, v28                             // 0000000093DC: 20383890
	v_cmp_u_f32_e64 s[74:75], v31, v31                         // 0000000093E0: D048004A 00023F1F
	v_bfe_u32 v248, v31, 16, 1                                 // 0000000093E8: D1C800F8 0205211F
	v_add3_u32 v248, v31, v248, v251                           // 0000000093F0: D1FF00F8 07EFF11F
	v_cndmask_b32_e64 v29, v248, v250, s[74:75]                // 0000000093F8: D100001D 012BF5F8
	v_and_or_b32 v72, v29, v249, v28                           // 000000009400: D2010048 0473F31D
	v_accvgpr_read_b32 v30, a210                               // 000000009408: D3D8401E 180001D2
	v_accvgpr_read_b32 v31, a211                               // 000000009410: D3D8401F 180001D3
	v_mul_f32_e32 v30, s47, v30                                // 000000009418: 0A3C3C2F
	v_mul_f32_e32 v31, s47, v31                                // 00000000941C: 0A3E3E2F
	v_cmp_u_f32_e64 s[74:75], v30, v30                         // 000000009420: D048004A 00023D1E
	v_bfe_u32 v248, v30, 16, 1                                 // 000000009428: D1C800F8 0205211E
	v_add3_u32 v248, v30, v248, v251                           // 000000009430: D1FF00F8 07EFF11E
	v_cndmask_b32_e64 v28, v248, v250, s[74:75]                // 000000009438: D100001C 012BF5F8
	v_lshrrev_b32_e32 v28, 16, v28                             // 000000009440: 20383890
	v_cmp_u_f32_e64 s[74:75], v31, v31                         // 000000009444: D048004A 00023F1F
	v_bfe_u32 v248, v31, 16, 1                                 // 00000000944C: D1C800F8 0205211F
	v_add3_u32 v248, v31, v248, v251                           // 000000009454: D1FF00F8 07EFF11F
	v_cndmask_b32_e64 v29, v248, v250, s[74:75]                // 00000000945C: D100001D 012BF5F8
	v_and_or_b32 v73, v29, v249, v28                           // 000000009464: D2010049 0473F31D
	v_accvgpr_read_b32 v30, a212                               // 00000000946C: D3D8401E 180001D4
	v_accvgpr_read_b32 v31, a213                               // 000000009474: D3D8401F 180001D5
	v_mul_f32_e32 v30, s47, v30                                // 00000000947C: 0A3C3C2F
	v_mul_f32_e32 v31, s47, v31                                // 000000009480: 0A3E3E2F
	v_cmp_u_f32_e64 s[74:75], v30, v30                         // 000000009484: D048004A 00023D1E
	v_bfe_u32 v248, v30, 16, 1                                 // 00000000948C: D1C800F8 0205211E
	v_add3_u32 v248, v30, v248, v251                           // 000000009494: D1FF00F8 07EFF11E
	v_cndmask_b32_e64 v28, v248, v250, s[74:75]                // 00000000949C: D100001C 012BF5F8
	v_lshrrev_b32_e32 v28, 16, v28                             // 0000000094A4: 20383890
	v_cmp_u_f32_e64 s[74:75], v31, v31                         // 0000000094A8: D048004A 00023F1F
	v_bfe_u32 v248, v31, 16, 1                                 // 0000000094B0: D1C800F8 0205211F
	v_add3_u32 v248, v31, v248, v251                           // 0000000094B8: D1FF00F8 07EFF11F
	v_cndmask_b32_e64 v29, v248, v250, s[74:75]                // 0000000094C0: D100001D 012BF5F8
	v_and_or_b32 v74, v29, v249, v28                           // 0000000094C8: D201004A 0473F31D
	v_accvgpr_read_b32 v30, a214                               // 0000000094D0: D3D8401E 180001D6
	v_accvgpr_read_b32 v31, a215                               // 0000000094D8: D3D8401F 180001D7
	v_mul_f32_e32 v30, s47, v30                                // 0000000094E0: 0A3C3C2F
	v_mul_f32_e32 v31, s47, v31                                // 0000000094E4: 0A3E3E2F
	v_cmp_u_f32_e64 s[74:75], v30, v30                         // 0000000094E8: D048004A 00023D1E
	v_bfe_u32 v248, v30, 16, 1                                 // 0000000094F0: D1C800F8 0205211E
	v_add3_u32 v248, v30, v248, v251                           // 0000000094F8: D1FF00F8 07EFF11E
	v_cndmask_b32_e64 v28, v248, v250, s[74:75]                // 000000009500: D100001C 012BF5F8
	v_lshrrev_b32_e32 v28, 16, v28                             // 000000009508: 20383890
	v_cmp_u_f32_e64 s[74:75], v31, v31                         // 00000000950C: D048004A 00023F1F
	v_bfe_u32 v248, v31, 16, 1                                 // 000000009514: D1C800F8 0205211F
	v_add3_u32 v248, v31, v248, v251                           // 00000000951C: D1FF00F8 07EFF11F
	v_cndmask_b32_e64 v29, v248, v250, s[74:75]                // 000000009524: D100001D 012BF5F8
	v_and_or_b32 v75, v29, v249, v28                           // 00000000952C: D201004B 0473F31D
	v_accvgpr_read_b32 v30, a216                               // 000000009534: D3D8401E 180001D8
	v_accvgpr_read_b32 v31, a217                               // 00000000953C: D3D8401F 180001D9
	v_mul_f32_e32 v30, s47, v30                                // 000000009544: 0A3C3C2F
	v_mul_f32_e32 v31, s47, v31                                // 000000009548: 0A3E3E2F
	v_cmp_u_f32_e64 s[74:75], v30, v30                         // 00000000954C: D048004A 00023D1E
	v_bfe_u32 v248, v30, 16, 1                                 // 000000009554: D1C800F8 0205211E
	v_add3_u32 v248, v30, v248, v251                           // 00000000955C: D1FF00F8 07EFF11E
	v_cndmask_b32_e64 v28, v248, v250, s[74:75]                // 000000009564: D100001C 012BF5F8
	v_lshrrev_b32_e32 v28, 16, v28                             // 00000000956C: 20383890
	v_cmp_u_f32_e64 s[74:75], v31, v31                         // 000000009570: D048004A 00023F1F
	v_bfe_u32 v248, v31, 16, 1                                 // 000000009578: D1C800F8 0205211F
	v_add3_u32 v248, v31, v248, v251                           // 000000009580: D1FF00F8 07EFF11F
	v_cndmask_b32_e64 v29, v248, v250, s[74:75]                // 000000009588: D100001D 012BF5F8
	v_and_or_b32 v76, v29, v249, v28                           // 000000009590: D201004C 0473F31D
	v_accvgpr_read_b32 v30, a218                               // 000000009598: D3D8401E 180001DA
	v_accvgpr_read_b32 v31, a219                               // 0000000095A0: D3D8401F 180001DB
	v_mul_f32_e32 v30, s47, v30                                // 0000000095A8: 0A3C3C2F
	v_mul_f32_e32 v31, s47, v31                                // 0000000095AC: 0A3E3E2F
	v_cmp_u_f32_e64 s[74:75], v30, v30                         // 0000000095B0: D048004A 00023D1E
	v_bfe_u32 v248, v30, 16, 1                                 // 0000000095B8: D1C800F8 0205211E
	v_add3_u32 v248, v30, v248, v251                           // 0000000095C0: D1FF00F8 07EFF11E
	v_cndmask_b32_e64 v28, v248, v250, s[74:75]                // 0000000095C8: D100001C 012BF5F8
	v_lshrrev_b32_e32 v28, 16, v28                             // 0000000095D0: 20383890
	v_cmp_u_f32_e64 s[74:75], v31, v31                         // 0000000095D4: D048004A 00023F1F
	v_bfe_u32 v248, v31, 16, 1                                 // 0000000095DC: D1C800F8 0205211F
	v_add3_u32 v248, v31, v248, v251                           // 0000000095E4: D1FF00F8 07EFF11F
	v_cndmask_b32_e64 v29, v248, v250, s[74:75]                // 0000000095EC: D100001D 012BF5F8
	v_and_or_b32 v77, v29, v249, v28                           // 0000000095F4: D201004D 0473F31D
	v_accvgpr_read_b32 v30, a220                               // 0000000095FC: D3D8401E 180001DC
	v_accvgpr_read_b32 v31, a221                               // 000000009604: D3D8401F 180001DD
	v_mul_f32_e32 v30, s47, v30                                // 00000000960C: 0A3C3C2F
	v_mul_f32_e32 v31, s47, v31                                // 000000009610: 0A3E3E2F
	v_cmp_u_f32_e64 s[74:75], v30, v30                         // 000000009614: D048004A 00023D1E
	v_bfe_u32 v248, v30, 16, 1                                 // 00000000961C: D1C800F8 0205211E
	v_add3_u32 v248, v30, v248, v251                           // 000000009624: D1FF00F8 07EFF11E
	v_cndmask_b32_e64 v28, v248, v250, s[74:75]                // 00000000962C: D100001C 012BF5F8
	v_lshrrev_b32_e32 v28, 16, v28                             // 000000009634: 20383890
	v_cmp_u_f32_e64 s[74:75], v31, v31                         // 000000009638: D048004A 00023F1F
	v_bfe_u32 v248, v31, 16, 1                                 // 000000009640: D1C800F8 0205211F
	v_add3_u32 v248, v31, v248, v251                           // 000000009648: D1FF00F8 07EFF11F
	v_cndmask_b32_e64 v29, v248, v250, s[74:75]                // 000000009650: D100001D 012BF5F8
	v_and_or_b32 v78, v29, v249, v28                           // 000000009658: D201004E 0473F31D
	v_accvgpr_read_b32 v30, a222                               // 000000009660: D3D8401E 180001DE
	v_accvgpr_read_b32 v31, a223                               // 000000009668: D3D8401F 180001DF
	v_mul_f32_e32 v30, s47, v30                                // 000000009670: 0A3C3C2F
	v_mul_f32_e32 v31, s47, v31                                // 000000009674: 0A3E3E2F
	v_cmp_u_f32_e64 s[74:75], v30, v30                         // 000000009678: D048004A 00023D1E
	v_bfe_u32 v248, v30, 16, 1                                 // 000000009680: D1C800F8 0205211E
	v_add3_u32 v248, v30, v248, v251                           // 000000009688: D1FF00F8 07EFF11E
	v_cndmask_b32_e64 v28, v248, v250, s[74:75]                // 000000009690: D100001C 012BF5F8
	v_lshrrev_b32_e32 v28, 16, v28                             // 000000009698: 20383890
	v_cmp_u_f32_e64 s[74:75], v31, v31                         // 00000000969C: D048004A 00023F1F
	v_bfe_u32 v248, v31, 16, 1                                 // 0000000096A4: D1C800F8 0205211F
	v_add3_u32 v248, v31, v248, v251                           // 0000000096AC: D1FF00F8 07EFF11F
	v_cndmask_b32_e64 v29, v248, v250, s[74:75]                // 0000000096B4: D100001D 012BF5F8
	v_and_or_b32 v79, v29, v249, v28                           // 0000000096BC: D201004F 0473F31D
	ds_write_b64 v25, v[64:65] offset:16896                    // 0000000096C4: D89A4200 00004019
	ds_write_b64 v25, v[66:67] offset:17424                    // 0000000096CC: D89A4410 00004219
	ds_write_b64 v25, v[68:69] offset:17952                    // 0000000096D4: D89A4620 00004419
	ds_write_b64 v25, v[70:71] offset:18480                    // 0000000096DC: D89A4830 00004619
	ds_write_b64 v25, v[72:73] offset:19008                    // 0000000096E4: D89A4A40 00004819
	ds_write_b64 v25, v[74:75] offset:19536                    // 0000000096EC: D89A4C50 00004A19
	ds_write_b64 v25, v[76:77] offset:20064                    // 0000000096F4: D89A4E60 00004C19
	ds_write_b64 v25, v[78:79] offset:20592                    // 0000000096FC: D89A5070 00004E19
	s_waitcnt lgkmcnt(0)                                       // 000000009704: BF8CC07F
	s_barrier                                                  // 000000009708: BF8A0000
	ds_read_b64 v[64:65], v24 offset:16896                     // 00000000970C: D8EC4200 40000018
	ds_read_b64 v[66:67], v24 offset:17024                     // 000000009714: D8EC4280 42000018
	ds_read_b64 v[68:69], v24 offset:16928                     // 00000000971C: D8EC4220 44000018
	ds_read_b64 v[70:71], v24 offset:17056                     // 000000009724: D8EC42A0 46000018
	ds_read_b64 v[72:73], v24 offset:16960                     // 00000000972C: D8EC4240 48000018
	ds_read_b64 v[74:75], v24 offset:17088                     // 000000009734: D8EC42C0 4A000018
	ds_read_b64 v[76:77], v24 offset:16992                     // 00000000973C: D8EC4260 4C000018
	ds_read_b64 v[78:79], v24 offset:17120                     // 000000009744: D8EC42E0 4E000018
	s_waitcnt lgkmcnt(0)                                       // 00000000974C: BF8CC07F
	s_mov_b32 s70, s52                                         // 000000009750: BEC60034
	buffer_store_dwordx4 v[64:67], v5, s[36:39], 0 idxen       // 000000009754: E07C2000 80094005
	v_add_u32_e32 v5, s70, v5                                  // 00000000975C: 680A0A46
	buffer_store_dwordx4 v[68:71], v5, s[36:39], 0 idxen       // 000000009760: E07C2000 80094405
	v_add_u32_e32 v5, s70, v5                                  // 000000009768: 680A0A46
	buffer_store_dwordx4 v[72:75], v5, s[36:39], 0 idxen       // 00000000976C: E07C2000 80094805
	v_add_u32_e32 v5, s70, v5                                  // 000000009774: 680A0A46
	buffer_store_dwordx4 v[76:79], v5, s[36:39], 0 idxen       // 000000009778: E07C2000 80094C05
	v_add_u32_e32 v5, s70, v5                                  // 000000009780: 680A0A46
	s_mul_i32 s60, 12, s70                                     // 000000009784: 923C468C
	v_add_u32_e32 v5, s60, v5                                  // 000000009788: 680A0A3C
	s_barrier                                                  // 00000000978C: BF8A0000
	s_cmp_ge_i32 2, s73                                        // 000000009790: BF034982
	s_cbranch_scc1 label_183F                                  // 000000009794: BF8501C5
	v_accvgpr_read_b32 v30, a224                               // 000000009798: D3D8401E 180001E0
	v_accvgpr_read_b32 v31, a225                               // 0000000097A0: D3D8401F 180001E1
	v_mul_f32_e32 v30, s47, v30                                // 0000000097A8: 0A3C3C2F
	v_mul_f32_e32 v31, s47, v31                                // 0000000097AC: 0A3E3E2F
	v_cmp_u_f32_e64 s[74:75], v30, v30                         // 0000000097B0: D048004A 00023D1E
	v_bfe_u32 v248, v30, 16, 1                                 // 0000000097B8: D1C800F8 0205211E
	v_add3_u32 v248, v30, v248, v251                           // 0000000097C0: D1FF00F8 07EFF11E
	v_cndmask_b32_e64 v28, v248, v250, s[74:75]                // 0000000097C8: D100001C 012BF5F8
	v_lshrrev_b32_e32 v28, 16, v28                             // 0000000097D0: 20383890
	v_cmp_u_f32_e64 s[74:75], v31, v31                         // 0000000097D4: D048004A 00023F1F
	v_bfe_u32 v248, v31, 16, 1                                 // 0000000097DC: D1C800F8 0205211F
	v_add3_u32 v248, v31, v248, v251                           // 0000000097E4: D1FF00F8 07EFF11F
	v_cndmask_b32_e64 v29, v248, v250, s[74:75]                // 0000000097EC: D100001D 012BF5F8
	v_and_or_b32 v80, v29, v249, v28                           // 0000000097F4: D2010050 0473F31D
	v_accvgpr_read_b32 v30, a226                               // 0000000097FC: D3D8401E 180001E2
	v_accvgpr_read_b32 v31, a227                               // 000000009804: D3D8401F 180001E3
	v_mul_f32_e32 v30, s47, v30                                // 00000000980C: 0A3C3C2F
	v_mul_f32_e32 v31, s47, v31                                // 000000009810: 0A3E3E2F
	v_cmp_u_f32_e64 s[74:75], v30, v30                         // 000000009814: D048004A 00023D1E
	v_bfe_u32 v248, v30, 16, 1                                 // 00000000981C: D1C800F8 0205211E
	v_add3_u32 v248, v30, v248, v251                           // 000000009824: D1FF00F8 07EFF11E
	v_cndmask_b32_e64 v28, v248, v250, s[74:75]                // 00000000982C: D100001C 012BF5F8
	v_lshrrev_b32_e32 v28, 16, v28                             // 000000009834: 20383890
	v_cmp_u_f32_e64 s[74:75], v31, v31                         // 000000009838: D048004A 00023F1F
	v_bfe_u32 v248, v31, 16, 1                                 // 000000009840: D1C800F8 0205211F
	v_add3_u32 v248, v31, v248, v251                           // 000000009848: D1FF00F8 07EFF11F
	v_cndmask_b32_e64 v29, v248, v250, s[74:75]                // 000000009850: D100001D 012BF5F8
	v_and_or_b32 v81, v29, v249, v28                           // 000000009858: D2010051 0473F31D
	v_accvgpr_read_b32 v30, a228                               // 000000009860: D3D8401E 180001E4
	v_accvgpr_read_b32 v31, a229                               // 000000009868: D3D8401F 180001E5
	v_mul_f32_e32 v30, s47, v30                                // 000000009870: 0A3C3C2F
	v_mul_f32_e32 v31, s47, v31                                // 000000009874: 0A3E3E2F
	v_cmp_u_f32_e64 s[74:75], v30, v30                         // 000000009878: D048004A 00023D1E
	v_bfe_u32 v248, v30, 16, 1                                 // 000000009880: D1C800F8 0205211E
	v_add3_u32 v248, v30, v248, v251                           // 000000009888: D1FF00F8 07EFF11E
	v_cndmask_b32_e64 v28, v248, v250, s[74:75]                // 000000009890: D100001C 012BF5F8
	v_lshrrev_b32_e32 v28, 16, v28                             // 000000009898: 20383890
	v_cmp_u_f32_e64 s[74:75], v31, v31                         // 00000000989C: D048004A 00023F1F
	v_bfe_u32 v248, v31, 16, 1                                 // 0000000098A4: D1C800F8 0205211F
	v_add3_u32 v248, v31, v248, v251                           // 0000000098AC: D1FF00F8 07EFF11F
	v_cndmask_b32_e64 v29, v248, v250, s[74:75]                // 0000000098B4: D100001D 012BF5F8
	v_and_or_b32 v82, v29, v249, v28                           // 0000000098BC: D2010052 0473F31D
	v_accvgpr_read_b32 v30, a230                               // 0000000098C4: D3D8401E 180001E6
	v_accvgpr_read_b32 v31, a231                               // 0000000098CC: D3D8401F 180001E7
	v_mul_f32_e32 v30, s47, v30                                // 0000000098D4: 0A3C3C2F
	v_mul_f32_e32 v31, s47, v31                                // 0000000098D8: 0A3E3E2F
	v_cmp_u_f32_e64 s[74:75], v30, v30                         // 0000000098DC: D048004A 00023D1E
	v_bfe_u32 v248, v30, 16, 1                                 // 0000000098E4: D1C800F8 0205211E
	v_add3_u32 v248, v30, v248, v251                           // 0000000098EC: D1FF00F8 07EFF11E
	v_cndmask_b32_e64 v28, v248, v250, s[74:75]                // 0000000098F4: D100001C 012BF5F8
	v_lshrrev_b32_e32 v28, 16, v28                             // 0000000098FC: 20383890
	v_cmp_u_f32_e64 s[74:75], v31, v31                         // 000000009900: D048004A 00023F1F
	v_bfe_u32 v248, v31, 16, 1                                 // 000000009908: D1C800F8 0205211F
	v_add3_u32 v248, v31, v248, v251                           // 000000009910: D1FF00F8 07EFF11F
	v_cndmask_b32_e64 v29, v248, v250, s[74:75]                // 000000009918: D100001D 012BF5F8
	v_and_or_b32 v83, v29, v249, v28                           // 000000009920: D2010053 0473F31D
	v_accvgpr_read_b32 v30, a232                               // 000000009928: D3D8401E 180001E8
	v_accvgpr_read_b32 v31, a233                               // 000000009930: D3D8401F 180001E9
	v_mul_f32_e32 v30, s47, v30                                // 000000009938: 0A3C3C2F
	v_mul_f32_e32 v31, s47, v31                                // 00000000993C: 0A3E3E2F
	v_cmp_u_f32_e64 s[74:75], v30, v30                         // 000000009940: D048004A 00023D1E
	v_bfe_u32 v248, v30, 16, 1                                 // 000000009948: D1C800F8 0205211E
	v_add3_u32 v248, v30, v248, v251                           // 000000009950: D1FF00F8 07EFF11E
	v_cndmask_b32_e64 v28, v248, v250, s[74:75]                // 000000009958: D100001C 012BF5F8
	v_lshrrev_b32_e32 v28, 16, v28                             // 000000009960: 20383890
	v_cmp_u_f32_e64 s[74:75], v31, v31                         // 000000009964: D048004A 00023F1F
	v_bfe_u32 v248, v31, 16, 1                                 // 00000000996C: D1C800F8 0205211F
	v_add3_u32 v248, v31, v248, v251                           // 000000009974: D1FF00F8 07EFF11F
	v_cndmask_b32_e64 v29, v248, v250, s[74:75]                // 00000000997C: D100001D 012BF5F8
	v_and_or_b32 v84, v29, v249, v28                           // 000000009984: D2010054 0473F31D
	v_accvgpr_read_b32 v30, a234                               // 00000000998C: D3D8401E 180001EA
	v_accvgpr_read_b32 v31, a235                               // 000000009994: D3D8401F 180001EB
	v_mul_f32_e32 v30, s47, v30                                // 00000000999C: 0A3C3C2F
	v_mul_f32_e32 v31, s47, v31                                // 0000000099A0: 0A3E3E2F
	v_cmp_u_f32_e64 s[74:75], v30, v30                         // 0000000099A4: D048004A 00023D1E
	v_bfe_u32 v248, v30, 16, 1                                 // 0000000099AC: D1C800F8 0205211E
	v_add3_u32 v248, v30, v248, v251                           // 0000000099B4: D1FF00F8 07EFF11E
	v_cndmask_b32_e64 v28, v248, v250, s[74:75]                // 0000000099BC: D100001C 012BF5F8
	v_lshrrev_b32_e32 v28, 16, v28                             // 0000000099C4: 20383890
	v_cmp_u_f32_e64 s[74:75], v31, v31                         // 0000000099C8: D048004A 00023F1F
	v_bfe_u32 v248, v31, 16, 1                                 // 0000000099D0: D1C800F8 0205211F
	v_add3_u32 v248, v31, v248, v251                           // 0000000099D8: D1FF00F8 07EFF11F
	v_cndmask_b32_e64 v29, v248, v250, s[74:75]                // 0000000099E0: D100001D 012BF5F8
	v_and_or_b32 v85, v29, v249, v28                           // 0000000099E8: D2010055 0473F31D
	v_accvgpr_read_b32 v30, a236                               // 0000000099F0: D3D8401E 180001EC
	v_accvgpr_read_b32 v31, a237                               // 0000000099F8: D3D8401F 180001ED
	v_mul_f32_e32 v30, s47, v30                                // 000000009A00: 0A3C3C2F
	v_mul_f32_e32 v31, s47, v31                                // 000000009A04: 0A3E3E2F
	v_cmp_u_f32_e64 s[74:75], v30, v30                         // 000000009A08: D048004A 00023D1E
	v_bfe_u32 v248, v30, 16, 1                                 // 000000009A10: D1C800F8 0205211E
	v_add3_u32 v248, v30, v248, v251                           // 000000009A18: D1FF00F8 07EFF11E
	v_cndmask_b32_e64 v28, v248, v250, s[74:75]                // 000000009A20: D100001C 012BF5F8
	v_lshrrev_b32_e32 v28, 16, v28                             // 000000009A28: 20383890
	v_cmp_u_f32_e64 s[74:75], v31, v31                         // 000000009A2C: D048004A 00023F1F
	v_bfe_u32 v248, v31, 16, 1                                 // 000000009A34: D1C800F8 0205211F
	v_add3_u32 v248, v31, v248, v251                           // 000000009A3C: D1FF00F8 07EFF11F
	v_cndmask_b32_e64 v29, v248, v250, s[74:75]                // 000000009A44: D100001D 012BF5F8
	v_and_or_b32 v86, v29, v249, v28                           // 000000009A4C: D2010056 0473F31D
	v_accvgpr_read_b32 v30, a238                               // 000000009A54: D3D8401E 180001EE
	v_accvgpr_read_b32 v31, a239                               // 000000009A5C: D3D8401F 180001EF
	v_mul_f32_e32 v30, s47, v30                                // 000000009A64: 0A3C3C2F
	v_mul_f32_e32 v31, s47, v31                                // 000000009A68: 0A3E3E2F
	v_cmp_u_f32_e64 s[74:75], v30, v30                         // 000000009A6C: D048004A 00023D1E
	v_bfe_u32 v248, v30, 16, 1                                 // 000000009A74: D1C800F8 0205211E
	v_add3_u32 v248, v30, v248, v251                           // 000000009A7C: D1FF00F8 07EFF11E
	v_cndmask_b32_e64 v28, v248, v250, s[74:75]                // 000000009A84: D100001C 012BF5F8
	v_lshrrev_b32_e32 v28, 16, v28                             // 000000009A8C: 20383890
	v_cmp_u_f32_e64 s[74:75], v31, v31                         // 000000009A90: D048004A 00023F1F
	v_bfe_u32 v248, v31, 16, 1                                 // 000000009A98: D1C800F8 0205211F
	v_add3_u32 v248, v31, v248, v251                           // 000000009AA0: D1FF00F8 07EFF11F
	v_cndmask_b32_e64 v29, v248, v250, s[74:75]                // 000000009AA8: D100001D 012BF5F8
	v_and_or_b32 v87, v29, v249, v28                           // 000000009AB0: D2010057 0473F31D
	v_accvgpr_read_b32 v30, a240                               // 000000009AB8: D3D8401E 180001F0
	v_accvgpr_read_b32 v31, a241                               // 000000009AC0: D3D8401F 180001F1
	v_mul_f32_e32 v30, s47, v30                                // 000000009AC8: 0A3C3C2F
	v_mul_f32_e32 v31, s47, v31                                // 000000009ACC: 0A3E3E2F
	v_cmp_u_f32_e64 s[74:75], v30, v30                         // 000000009AD0: D048004A 00023D1E
	v_bfe_u32 v248, v30, 16, 1                                 // 000000009AD8: D1C800F8 0205211E
	v_add3_u32 v248, v30, v248, v251                           // 000000009AE0: D1FF00F8 07EFF11E
	v_cndmask_b32_e64 v28, v248, v250, s[74:75]                // 000000009AE8: D100001C 012BF5F8
	v_lshrrev_b32_e32 v28, 16, v28                             // 000000009AF0: 20383890
	v_cmp_u_f32_e64 s[74:75], v31, v31                         // 000000009AF4: D048004A 00023F1F
	v_bfe_u32 v248, v31, 16, 1                                 // 000000009AFC: D1C800F8 0205211F
	v_add3_u32 v248, v31, v248, v251                           // 000000009B04: D1FF00F8 07EFF11F
	v_cndmask_b32_e64 v29, v248, v250, s[74:75]                // 000000009B0C: D100001D 012BF5F8
	v_and_or_b32 v88, v29, v249, v28                           // 000000009B14: D2010058 0473F31D
	v_accvgpr_read_b32 v30, a242                               // 000000009B1C: D3D8401E 180001F2
	v_accvgpr_read_b32 v31, a243                               // 000000009B24: D3D8401F 180001F3
	v_mul_f32_e32 v30, s47, v30                                // 000000009B2C: 0A3C3C2F
	v_mul_f32_e32 v31, s47, v31                                // 000000009B30: 0A3E3E2F
	v_cmp_u_f32_e64 s[74:75], v30, v30                         // 000000009B34: D048004A 00023D1E
	v_bfe_u32 v248, v30, 16, 1                                 // 000000009B3C: D1C800F8 0205211E
	v_add3_u32 v248, v30, v248, v251                           // 000000009B44: D1FF00F8 07EFF11E
	v_cndmask_b32_e64 v28, v248, v250, s[74:75]                // 000000009B4C: D100001C 012BF5F8
	v_lshrrev_b32_e32 v28, 16, v28                             // 000000009B54: 20383890
	v_cmp_u_f32_e64 s[74:75], v31, v31                         // 000000009B58: D048004A 00023F1F
	v_bfe_u32 v248, v31, 16, 1                                 // 000000009B60: D1C800F8 0205211F
	v_add3_u32 v248, v31, v248, v251                           // 000000009B68: D1FF00F8 07EFF11F
	v_cndmask_b32_e64 v29, v248, v250, s[74:75]                // 000000009B70: D100001D 012BF5F8
	v_and_or_b32 v89, v29, v249, v28                           // 000000009B78: D2010059 0473F31D
	v_accvgpr_read_b32 v30, a244                               // 000000009B80: D3D8401E 180001F4
	v_accvgpr_read_b32 v31, a245                               // 000000009B88: D3D8401F 180001F5
	v_mul_f32_e32 v30, s47, v30                                // 000000009B90: 0A3C3C2F
	v_mul_f32_e32 v31, s47, v31                                // 000000009B94: 0A3E3E2F
	v_cmp_u_f32_e64 s[74:75], v30, v30                         // 000000009B98: D048004A 00023D1E
	v_bfe_u32 v248, v30, 16, 1                                 // 000000009BA0: D1C800F8 0205211E
	v_add3_u32 v248, v30, v248, v251                           // 000000009BA8: D1FF00F8 07EFF11E
	v_cndmask_b32_e64 v28, v248, v250, s[74:75]                // 000000009BB0: D100001C 012BF5F8
	v_lshrrev_b32_e32 v28, 16, v28                             // 000000009BB8: 20383890
	v_cmp_u_f32_e64 s[74:75], v31, v31                         // 000000009BBC: D048004A 00023F1F
	v_bfe_u32 v248, v31, 16, 1                                 // 000000009BC4: D1C800F8 0205211F
	v_add3_u32 v248, v31, v248, v251                           // 000000009BCC: D1FF00F8 07EFF11F
	v_cndmask_b32_e64 v29, v248, v250, s[74:75]                // 000000009BD4: D100001D 012BF5F8
	v_and_or_b32 v90, v29, v249, v28                           // 000000009BDC: D201005A 0473F31D
	v_accvgpr_read_b32 v30, a246                               // 000000009BE4: D3D8401E 180001F6
	v_accvgpr_read_b32 v31, a247                               // 000000009BEC: D3D8401F 180001F7
	v_mul_f32_e32 v30, s47, v30                                // 000000009BF4: 0A3C3C2F
	v_mul_f32_e32 v31, s47, v31                                // 000000009BF8: 0A3E3E2F
	v_cmp_u_f32_e64 s[74:75], v30, v30                         // 000000009BFC: D048004A 00023D1E
	v_bfe_u32 v248, v30, 16, 1                                 // 000000009C04: D1C800F8 0205211E
	v_add3_u32 v248, v30, v248, v251                           // 000000009C0C: D1FF00F8 07EFF11E
	v_cndmask_b32_e64 v28, v248, v250, s[74:75]                // 000000009C14: D100001C 012BF5F8
	v_lshrrev_b32_e32 v28, 16, v28                             // 000000009C1C: 20383890
	v_cmp_u_f32_e64 s[74:75], v31, v31                         // 000000009C20: D048004A 00023F1F
	v_bfe_u32 v248, v31, 16, 1                                 // 000000009C28: D1C800F8 0205211F
	v_add3_u32 v248, v31, v248, v251                           // 000000009C30: D1FF00F8 07EFF11F
	v_cndmask_b32_e64 v29, v248, v250, s[74:75]                // 000000009C38: D100001D 012BF5F8
	v_and_or_b32 v91, v29, v249, v28                           // 000000009C40: D201005B 0473F31D
	v_accvgpr_read_b32 v30, a248                               // 000000009C48: D3D8401E 180001F8
	v_accvgpr_read_b32 v31, a249                               // 000000009C50: D3D8401F 180001F9
	v_mul_f32_e32 v30, s47, v30                                // 000000009C58: 0A3C3C2F
	v_mul_f32_e32 v31, s47, v31                                // 000000009C5C: 0A3E3E2F
	v_cmp_u_f32_e64 s[74:75], v30, v30                         // 000000009C60: D048004A 00023D1E
	v_bfe_u32 v248, v30, 16, 1                                 // 000000009C68: D1C800F8 0205211E
	v_add3_u32 v248, v30, v248, v251                           // 000000009C70: D1FF00F8 07EFF11E
	v_cndmask_b32_e64 v28, v248, v250, s[74:75]                // 000000009C78: D100001C 012BF5F8
	v_lshrrev_b32_e32 v28, 16, v28                             // 000000009C80: 20383890
	v_cmp_u_f32_e64 s[74:75], v31, v31                         // 000000009C84: D048004A 00023F1F
	v_bfe_u32 v248, v31, 16, 1                                 // 000000009C8C: D1C800F8 0205211F
	v_add3_u32 v248, v31, v248, v251                           // 000000009C94: D1FF00F8 07EFF11F
	v_cndmask_b32_e64 v29, v248, v250, s[74:75]                // 000000009C9C: D100001D 012BF5F8
	v_and_or_b32 v92, v29, v249, v28                           // 000000009CA4: D201005C 0473F31D
	v_accvgpr_read_b32 v30, a250                               // 000000009CAC: D3D8401E 180001FA
	v_accvgpr_read_b32 v31, a251                               // 000000009CB4: D3D8401F 180001FB
	v_mul_f32_e32 v30, s47, v30                                // 000000009CBC: 0A3C3C2F
	v_mul_f32_e32 v31, s47, v31                                // 000000009CC0: 0A3E3E2F
	v_cmp_u_f32_e64 s[74:75], v30, v30                         // 000000009CC4: D048004A 00023D1E
	v_bfe_u32 v248, v30, 16, 1                                 // 000000009CCC: D1C800F8 0205211E
	v_add3_u32 v248, v30, v248, v251                           // 000000009CD4: D1FF00F8 07EFF11E
	v_cndmask_b32_e64 v28, v248, v250, s[74:75]                // 000000009CDC: D100001C 012BF5F8
	v_lshrrev_b32_e32 v28, 16, v28                             // 000000009CE4: 20383890
	v_cmp_u_f32_e64 s[74:75], v31, v31                         // 000000009CE8: D048004A 00023F1F
	v_bfe_u32 v248, v31, 16, 1                                 // 000000009CF0: D1C800F8 0205211F
	v_add3_u32 v248, v31, v248, v251                           // 000000009CF8: D1FF00F8 07EFF11F
	v_cndmask_b32_e64 v29, v248, v250, s[74:75]                // 000000009D00: D100001D 012BF5F8
	v_and_or_b32 v93, v29, v249, v28                           // 000000009D08: D201005D 0473F31D
	v_accvgpr_read_b32 v30, a252                               // 000000009D10: D3D8401E 180001FC
	v_accvgpr_read_b32 v31, a253                               // 000000009D18: D3D8401F 180001FD
	v_mul_f32_e32 v30, s47, v30                                // 000000009D20: 0A3C3C2F
	v_mul_f32_e32 v31, s47, v31                                // 000000009D24: 0A3E3E2F
	v_cmp_u_f32_e64 s[74:75], v30, v30                         // 000000009D28: D048004A 00023D1E
	v_bfe_u32 v248, v30, 16, 1                                 // 000000009D30: D1C800F8 0205211E
	v_add3_u32 v248, v30, v248, v251                           // 000000009D38: D1FF00F8 07EFF11E
	v_cndmask_b32_e64 v28, v248, v250, s[74:75]                // 000000009D40: D100001C 012BF5F8
	v_lshrrev_b32_e32 v28, 16, v28                             // 000000009D48: 20383890
	v_cmp_u_f32_e64 s[74:75], v31, v31                         // 000000009D4C: D048004A 00023F1F
	v_bfe_u32 v248, v31, 16, 1                                 // 000000009D54: D1C800F8 0205211F
	v_add3_u32 v248, v31, v248, v251                           // 000000009D5C: D1FF00F8 07EFF11F
	v_cndmask_b32_e64 v29, v248, v250, s[74:75]                // 000000009D64: D100001D 012BF5F8
	v_and_or_b32 v94, v29, v249, v28                           // 000000009D6C: D201005E 0473F31D
	v_accvgpr_read_b32 v30, a254                               // 000000009D74: D3D8401E 180001FE
	v_accvgpr_read_b32 v31, a255                               // 000000009D7C: D3D8401F 180001FF
	v_mul_f32_e32 v30, s47, v30                                // 000000009D84: 0A3C3C2F
	v_mul_f32_e32 v31, s47, v31                                // 000000009D88: 0A3E3E2F
	v_cmp_u_f32_e64 s[74:75], v30, v30                         // 000000009D8C: D048004A 00023D1E
	v_bfe_u32 v248, v30, 16, 1                                 // 000000009D94: D1C800F8 0205211E
	v_add3_u32 v248, v30, v248, v251                           // 000000009D9C: D1FF00F8 07EFF11E
	v_cndmask_b32_e64 v28, v248, v250, s[74:75]                // 000000009DA4: D100001C 012BF5F8
	v_lshrrev_b32_e32 v28, 16, v28                             // 000000009DAC: 20383890
	v_cmp_u_f32_e64 s[74:75], v31, v31                         // 000000009DB0: D048004A 00023F1F
	v_bfe_u32 v248, v31, 16, 1                                 // 000000009DB8: D1C800F8 0205211F
	v_add3_u32 v248, v31, v248, v251                           // 000000009DC0: D1FF00F8 07EFF11F
	v_cndmask_b32_e64 v29, v248, v250, s[74:75]                // 000000009DC8: D100001D 012BF5F8
	v_and_or_b32 v95, v29, v249, v28                           // 000000009DD0: D201005F 0473F31D
	ds_write_b64 v25, v[80:81] offset:33792                    // 000000009DD8: D89A8400 00005019
	ds_write_b64 v25, v[82:83] offset:34320                    // 000000009DE0: D89A8610 00005219
	ds_write_b64 v25, v[84:85] offset:34848                    // 000000009DE8: D89A8820 00005419
	ds_write_b64 v25, v[86:87] offset:35376                    // 000000009DF0: D89A8A30 00005619
	ds_write_b64 v25, v[88:89] offset:35904                    // 000000009DF8: D89A8C40 00005819
	ds_write_b64 v25, v[90:91] offset:36432                    // 000000009E00: D89A8E50 00005A19
	ds_write_b64 v25, v[92:93] offset:36960                    // 000000009E08: D89A9060 00005C19
	ds_write_b64 v25, v[94:95] offset:37488                    // 000000009E10: D89A9270 00005E19
	s_waitcnt lgkmcnt(0)                                       // 000000009E18: BF8CC07F
	s_barrier                                                  // 000000009E1C: BF8A0000
	ds_read_b64 v[80:81], v24 offset:33792                     // 000000009E20: D8EC8400 50000018
	ds_read_b64 v[82:83], v24 offset:33920                     // 000000009E28: D8EC8480 52000018
	ds_read_b64 v[84:85], v24 offset:33824                     // 000000009E30: D8EC8420 54000018
	ds_read_b64 v[86:87], v24 offset:33952                     // 000000009E38: D8EC84A0 56000018
	ds_read_b64 v[88:89], v24 offset:33856                     // 000000009E40: D8EC8440 58000018
	ds_read_b64 v[90:91], v24 offset:33984                     // 000000009E48: D8EC84C0 5A000018
	ds_read_b64 v[92:93], v24 offset:33888                     // 000000009E50: D8EC8460 5C000018
	ds_read_b64 v[94:95], v24 offset:34016                     // 000000009E58: D8EC84E0 5E000018
	s_waitcnt lgkmcnt(0)                                       // 000000009E60: BF8CC07F
	s_mov_b32 s70, s52                                         // 000000009E64: BEC60034
	buffer_store_dwordx4 v[80:83], v5, s[36:39], 0 idxen       // 000000009E68: E07C2000 80095005
	v_add_u32_e32 v5, s70, v5                                  // 000000009E70: 680A0A46
	buffer_store_dwordx4 v[84:87], v5, s[36:39], 0 idxen       // 000000009E74: E07C2000 80095405
	v_add_u32_e32 v5, s70, v5                                  // 000000009E7C: 680A0A46
	buffer_store_dwordx4 v[88:91], v5, s[36:39], 0 idxen       // 000000009E80: E07C2000 80095805
	v_add_u32_e32 v5, s70, v5                                  // 000000009E88: 680A0A46
	buffer_store_dwordx4 v[92:95], v5, s[36:39], 0 idxen       // 000000009E8C: E07C2000 80095C05
	v_add_u32_e32 v5, s70, v5                                  // 000000009E94: 680A0A46
	s_mul_i32 s60, 12, s70                                     // 000000009E98: 923C468C
	v_add_u32_e32 v5, s60, v5                                  // 000000009E9C: 680A0A3C
	s_barrier                                                  // 000000009EA0: BF8A0000
	s_cmp_ge_i32 3, s73                                        // 000000009EA4: BF034983
	s_cbranch_scc1 label_183F                                  // 000000009EA8: BF850000

0000000000009eac <label_183F>:
	v_mov_b32_e32 v30, v152                                    // 000000009EAC: 7E3C0398
	v_mov_b32_e32 v31, v153                                    // 000000009EB0: 7E3E0399
	v_cmp_u_f32_e64 s[74:75], v30, v30                         // 000000009EB4: D048004A 00023D1E
	v_bfe_u32 v248, v30, 16, 1                                 // 000000009EBC: D1C800F8 0205211E
	v_add3_u32 v248, v30, v248, v251                           // 000000009EC4: D1FF00F8 07EFF11E
	v_cndmask_b32_e64 v28, v248, v250, s[74:75]                // 000000009ECC: D100001C 012BF5F8
	v_lshrrev_b32_e32 v28, 16, v28                             // 000000009ED4: 20383890
	v_cmp_u_f32_e64 s[74:75], v31, v31                         // 000000009ED8: D048004A 00023F1F
	v_bfe_u32 v248, v31, 16, 1                                 // 000000009EE0: D1C800F8 0205211F
	v_add3_u32 v248, v31, v248, v251                           // 000000009EE8: D1FF00F8 07EFF11F
	v_cndmask_b32_e64 v29, v248, v250, s[74:75]                // 000000009EF0: D100001D 012BF5F8
	v_and_or_b32 v152, v29, v249, v28                          // 000000009EF8: D2010098 0473F31D
	v_mov_b32_e32 v30, v154                                    // 000000009F00: 7E3C039A
	v_mov_b32_e32 v31, v155                                    // 000000009F04: 7E3E039B
	v_cmp_u_f32_e64 s[74:75], v30, v30                         // 000000009F08: D048004A 00023D1E
	v_bfe_u32 v248, v30, 16, 1                                 // 000000009F10: D1C800F8 0205211E
	v_add3_u32 v248, v30, v248, v251                           // 000000009F18: D1FF00F8 07EFF11E
	v_cndmask_b32_e64 v28, v248, v250, s[74:75]                // 000000009F20: D100001C 012BF5F8
	v_lshrrev_b32_e32 v28, 16, v28                             // 000000009F28: 20383890
	v_cmp_u_f32_e64 s[74:75], v31, v31                         // 000000009F2C: D048004A 00023F1F
	v_bfe_u32 v248, v31, 16, 1                                 // 000000009F34: D1C800F8 0205211F
	v_add3_u32 v248, v31, v248, v251                           // 000000009F3C: D1FF00F8 07EFF11F
	v_cndmask_b32_e64 v29, v248, v250, s[74:75]                // 000000009F44: D100001D 012BF5F8
	v_and_or_b32 v153, v29, v249, v28                          // 000000009F4C: D2010099 0473F31D
	v_mov_b32_e32 v30, v156                                    // 000000009F54: 7E3C039C
	v_mov_b32_e32 v31, v157                                    // 000000009F58: 7E3E039D
	v_cmp_u_f32_e64 s[74:75], v30, v30                         // 000000009F5C: D048004A 00023D1E
	v_bfe_u32 v248, v30, 16, 1                                 // 000000009F64: D1C800F8 0205211E
	v_add3_u32 v248, v30, v248, v251                           // 000000009F6C: D1FF00F8 07EFF11E
	v_cndmask_b32_e64 v28, v248, v250, s[74:75]                // 000000009F74: D100001C 012BF5F8
	v_lshrrev_b32_e32 v28, 16, v28                             // 000000009F7C: 20383890
	v_cmp_u_f32_e64 s[74:75], v31, v31                         // 000000009F80: D048004A 00023F1F
	v_bfe_u32 v248, v31, 16, 1                                 // 000000009F88: D1C800F8 0205211F
	v_add3_u32 v248, v31, v248, v251                           // 000000009F90: D1FF00F8 07EFF11F
	v_cndmask_b32_e64 v29, v248, v250, s[74:75]                // 000000009F98: D100001D 012BF5F8
	v_and_or_b32 v154, v29, v249, v28                          // 000000009FA0: D201009A 0473F31D
	v_mov_b32_e32 v30, v158                                    // 000000009FA8: 7E3C039E
	v_mov_b32_e32 v31, v159                                    // 000000009FAC: 7E3E039F
	v_cmp_u_f32_e64 s[74:75], v30, v30                         // 000000009FB0: D048004A 00023D1E
	v_bfe_u32 v248, v30, 16, 1                                 // 000000009FB8: D1C800F8 0205211E
	v_add3_u32 v248, v30, v248, v251                           // 000000009FC0: D1FF00F8 07EFF11E
	v_cndmask_b32_e64 v28, v248, v250, s[74:75]                // 000000009FC8: D100001C 012BF5F8
	v_lshrrev_b32_e32 v28, 16, v28                             // 000000009FD0: 20383890
	v_cmp_u_f32_e64 s[74:75], v31, v31                         // 000000009FD4: D048004A 00023F1F
	v_bfe_u32 v248, v31, 16, 1                                 // 000000009FDC: D1C800F8 0205211F
	v_add3_u32 v248, v31, v248, v251                           // 000000009FE4: D1FF00F8 07EFF11F
	v_cndmask_b32_e64 v29, v248, v250, s[74:75]                // 000000009FEC: D100001D 012BF5F8
	v_and_or_b32 v155, v29, v249, v28                          // 000000009FF4: D201009B 0473F31D
	v_mov_b32_e32 v30, v160                                    // 000000009FFC: 7E3C03A0
	v_mov_b32_e32 v31, v161                                    // 00000000A000: 7E3E03A1
	v_cmp_u_f32_e64 s[74:75], v30, v30                         // 00000000A004: D048004A 00023D1E
	v_bfe_u32 v248, v30, 16, 1                                 // 00000000A00C: D1C800F8 0205211E
	v_add3_u32 v248, v30, v248, v251                           // 00000000A014: D1FF00F8 07EFF11E
	v_cndmask_b32_e64 v28, v248, v250, s[74:75]                // 00000000A01C: D100001C 012BF5F8
	v_lshrrev_b32_e32 v28, 16, v28                             // 00000000A024: 20383890
	v_cmp_u_f32_e64 s[74:75], v31, v31                         // 00000000A028: D048004A 00023F1F
	v_bfe_u32 v248, v31, 16, 1                                 // 00000000A030: D1C800F8 0205211F
	v_add3_u32 v248, v31, v248, v251                           // 00000000A038: D1FF00F8 07EFF11F
	v_cndmask_b32_e64 v29, v248, v250, s[74:75]                // 00000000A040: D100001D 012BF5F8
	v_and_or_b32 v156, v29, v249, v28                          // 00000000A048: D201009C 0473F31D
	v_mov_b32_e32 v30, v162                                    // 00000000A050: 7E3C03A2
	v_mov_b32_e32 v31, v163                                    // 00000000A054: 7E3E03A3
	v_cmp_u_f32_e64 s[74:75], v30, v30                         // 00000000A058: D048004A 00023D1E
	v_bfe_u32 v248, v30, 16, 1                                 // 00000000A060: D1C800F8 0205211E
	v_add3_u32 v248, v30, v248, v251                           // 00000000A068: D1FF00F8 07EFF11E
	v_cndmask_b32_e64 v28, v248, v250, s[74:75]                // 00000000A070: D100001C 012BF5F8
	v_lshrrev_b32_e32 v28, 16, v28                             // 00000000A078: 20383890
	v_cmp_u_f32_e64 s[74:75], v31, v31                         // 00000000A07C: D048004A 00023F1F
	v_bfe_u32 v248, v31, 16, 1                                 // 00000000A084: D1C800F8 0205211F
	v_add3_u32 v248, v31, v248, v251                           // 00000000A08C: D1FF00F8 07EFF11F
	v_cndmask_b32_e64 v29, v248, v250, s[74:75]                // 00000000A094: D100001D 012BF5F8
	v_and_or_b32 v157, v29, v249, v28                          // 00000000A09C: D201009D 0473F31D
	v_mov_b32_e32 v30, v164                                    // 00000000A0A4: 7E3C03A4
	v_mov_b32_e32 v31, v165                                    // 00000000A0A8: 7E3E03A5
	v_cmp_u_f32_e64 s[74:75], v30, v30                         // 00000000A0AC: D048004A 00023D1E
	v_bfe_u32 v248, v30, 16, 1                                 // 00000000A0B4: D1C800F8 0205211E
	v_add3_u32 v248, v30, v248, v251                           // 00000000A0BC: D1FF00F8 07EFF11E
	v_cndmask_b32_e64 v28, v248, v250, s[74:75]                // 00000000A0C4: D100001C 012BF5F8
	v_lshrrev_b32_e32 v28, 16, v28                             // 00000000A0CC: 20383890
	v_cmp_u_f32_e64 s[74:75], v31, v31                         // 00000000A0D0: D048004A 00023F1F
	v_bfe_u32 v248, v31, 16, 1                                 // 00000000A0D8: D1C800F8 0205211F
	v_add3_u32 v248, v31, v248, v251                           // 00000000A0E0: D1FF00F8 07EFF11F
	v_cndmask_b32_e64 v29, v248, v250, s[74:75]                // 00000000A0E8: D100001D 012BF5F8
	v_and_or_b32 v158, v29, v249, v28                          // 00000000A0F0: D201009E 0473F31D
	v_mov_b32_e32 v30, v166                                    // 00000000A0F8: 7E3C03A6
	v_mov_b32_e32 v31, v167                                    // 00000000A0FC: 7E3E03A7
	v_cmp_u_f32_e64 s[74:75], v30, v30                         // 00000000A100: D048004A 00023D1E
	v_bfe_u32 v248, v30, 16, 1                                 // 00000000A108: D1C800F8 0205211E
	v_add3_u32 v248, v30, v248, v251                           // 00000000A110: D1FF00F8 07EFF11E
	v_cndmask_b32_e64 v28, v248, v250, s[74:75]                // 00000000A118: D100001C 012BF5F8
	v_lshrrev_b32_e32 v28, 16, v28                             // 00000000A120: 20383890
	v_cmp_u_f32_e64 s[74:75], v31, v31                         // 00000000A124: D048004A 00023F1F
	v_bfe_u32 v248, v31, 16, 1                                 // 00000000A12C: D1C800F8 0205211F
	v_add3_u32 v248, v31, v248, v251                           // 00000000A134: D1FF00F8 07EFF11F
	v_cndmask_b32_e64 v29, v248, v250, s[74:75]                // 00000000A13C: D100001D 012BF5F8
	v_and_or_b32 v159, v29, v249, v28                          // 00000000A144: D201009F 0473F31D
	v_mov_b32_e32 v30, v168                                    // 00000000A14C: 7E3C03A8
	v_mov_b32_e32 v31, v169                                    // 00000000A150: 7E3E03A9
	v_cmp_u_f32_e64 s[74:75], v30, v30                         // 00000000A154: D048004A 00023D1E
	v_bfe_u32 v248, v30, 16, 1                                 // 00000000A15C: D1C800F8 0205211E
	v_add3_u32 v248, v30, v248, v251                           // 00000000A164: D1FF00F8 07EFF11E
	v_cndmask_b32_e64 v28, v248, v250, s[74:75]                // 00000000A16C: D100001C 012BF5F8
	v_lshrrev_b32_e32 v28, 16, v28                             // 00000000A174: 20383890
	v_cmp_u_f32_e64 s[74:75], v31, v31                         // 00000000A178: D048004A 00023F1F
	v_bfe_u32 v248, v31, 16, 1                                 // 00000000A180: D1C800F8 0205211F
	v_add3_u32 v248, v31, v248, v251                           // 00000000A188: D1FF00F8 07EFF11F
	v_cndmask_b32_e64 v29, v248, v250, s[74:75]                // 00000000A190: D100001D 012BF5F8
	v_and_or_b32 v160, v29, v249, v28                          // 00000000A198: D20100A0 0473F31D
	v_mov_b32_e32 v30, v170                                    // 00000000A1A0: 7E3C03AA
	v_mov_b32_e32 v31, v171                                    // 00000000A1A4: 7E3E03AB
	v_cmp_u_f32_e64 s[74:75], v30, v30                         // 00000000A1A8: D048004A 00023D1E
	v_bfe_u32 v248, v30, 16, 1                                 // 00000000A1B0: D1C800F8 0205211E
	v_add3_u32 v248, v30, v248, v251                           // 00000000A1B8: D1FF00F8 07EFF11E
	v_cndmask_b32_e64 v28, v248, v250, s[74:75]                // 00000000A1C0: D100001C 012BF5F8
	v_lshrrev_b32_e32 v28, 16, v28                             // 00000000A1C8: 20383890
	v_cmp_u_f32_e64 s[74:75], v31, v31                         // 00000000A1CC: D048004A 00023F1F
	v_bfe_u32 v248, v31, 16, 1                                 // 00000000A1D4: D1C800F8 0205211F
	v_add3_u32 v248, v31, v248, v251                           // 00000000A1DC: D1FF00F8 07EFF11F
	v_cndmask_b32_e64 v29, v248, v250, s[74:75]                // 00000000A1E4: D100001D 012BF5F8
	v_and_or_b32 v161, v29, v249, v28                          // 00000000A1EC: D20100A1 0473F31D
	v_mov_b32_e32 v30, v172                                    // 00000000A1F4: 7E3C03AC
	v_mov_b32_e32 v31, v173                                    // 00000000A1F8: 7E3E03AD
	v_cmp_u_f32_e64 s[74:75], v30, v30                         // 00000000A1FC: D048004A 00023D1E
	v_bfe_u32 v248, v30, 16, 1                                 // 00000000A204: D1C800F8 0205211E
	v_add3_u32 v248, v30, v248, v251                           // 00000000A20C: D1FF00F8 07EFF11E
	v_cndmask_b32_e64 v28, v248, v250, s[74:75]                // 00000000A214: D100001C 012BF5F8
	v_lshrrev_b32_e32 v28, 16, v28                             // 00000000A21C: 20383890
	v_cmp_u_f32_e64 s[74:75], v31, v31                         // 00000000A220: D048004A 00023F1F
	v_bfe_u32 v248, v31, 16, 1                                 // 00000000A228: D1C800F8 0205211F
	v_add3_u32 v248, v31, v248, v251                           // 00000000A230: D1FF00F8 07EFF11F
	v_cndmask_b32_e64 v29, v248, v250, s[74:75]                // 00000000A238: D100001D 012BF5F8
	v_and_or_b32 v162, v29, v249, v28                          // 00000000A240: D20100A2 0473F31D
	v_mov_b32_e32 v30, v174                                    // 00000000A248: 7E3C03AE
	v_mov_b32_e32 v31, v175                                    // 00000000A24C: 7E3E03AF
	v_cmp_u_f32_e64 s[74:75], v30, v30                         // 00000000A250: D048004A 00023D1E
	v_bfe_u32 v248, v30, 16, 1                                 // 00000000A258: D1C800F8 0205211E
	v_add3_u32 v248, v30, v248, v251                           // 00000000A260: D1FF00F8 07EFF11E
	v_cndmask_b32_e64 v28, v248, v250, s[74:75]                // 00000000A268: D100001C 012BF5F8
	v_lshrrev_b32_e32 v28, 16, v28                             // 00000000A270: 20383890
	v_cmp_u_f32_e64 s[74:75], v31, v31                         // 00000000A274: D048004A 00023F1F
	v_bfe_u32 v248, v31, 16, 1                                 // 00000000A27C: D1C800F8 0205211F
	v_add3_u32 v248, v31, v248, v251                           // 00000000A284: D1FF00F8 07EFF11F
	v_cndmask_b32_e64 v29, v248, v250, s[74:75]                // 00000000A28C: D100001D 012BF5F8
	v_and_or_b32 v163, v29, v249, v28                          // 00000000A294: D20100A3 0473F31D
	v_mov_b32_e32 v30, v176                                    // 00000000A29C: 7E3C03B0
	v_mov_b32_e32 v31, v177                                    // 00000000A2A0: 7E3E03B1
	v_cmp_u_f32_e64 s[74:75], v30, v30                         // 00000000A2A4: D048004A 00023D1E
	v_bfe_u32 v248, v30, 16, 1                                 // 00000000A2AC: D1C800F8 0205211E
	v_add3_u32 v248, v30, v248, v251                           // 00000000A2B4: D1FF00F8 07EFF11E
	v_cndmask_b32_e64 v28, v248, v250, s[74:75]                // 00000000A2BC: D100001C 012BF5F8
	v_lshrrev_b32_e32 v28, 16, v28                             // 00000000A2C4: 20383890
	v_cmp_u_f32_e64 s[74:75], v31, v31                         // 00000000A2C8: D048004A 00023F1F
	v_bfe_u32 v248, v31, 16, 1                                 // 00000000A2D0: D1C800F8 0205211F
	v_add3_u32 v248, v31, v248, v251                           // 00000000A2D8: D1FF00F8 07EFF11F
	v_cndmask_b32_e64 v29, v248, v250, s[74:75]                // 00000000A2E0: D100001D 012BF5F8
	v_and_or_b32 v164, v29, v249, v28                          // 00000000A2E8: D20100A4 0473F31D
	v_mov_b32_e32 v30, v178                                    // 00000000A2F0: 7E3C03B2
	v_mov_b32_e32 v31, v179                                    // 00000000A2F4: 7E3E03B3
	v_cmp_u_f32_e64 s[74:75], v30, v30                         // 00000000A2F8: D048004A 00023D1E
	v_bfe_u32 v248, v30, 16, 1                                 // 00000000A300: D1C800F8 0205211E
	v_add3_u32 v248, v30, v248, v251                           // 00000000A308: D1FF00F8 07EFF11E
	v_cndmask_b32_e64 v28, v248, v250, s[74:75]                // 00000000A310: D100001C 012BF5F8
	v_lshrrev_b32_e32 v28, 16, v28                             // 00000000A318: 20383890
	v_cmp_u_f32_e64 s[74:75], v31, v31                         // 00000000A31C: D048004A 00023F1F
	v_bfe_u32 v248, v31, 16, 1                                 // 00000000A324: D1C800F8 0205211F
	v_add3_u32 v248, v31, v248, v251                           // 00000000A32C: D1FF00F8 07EFF11F
	v_cndmask_b32_e64 v29, v248, v250, s[74:75]                // 00000000A334: D100001D 012BF5F8
	v_and_or_b32 v165, v29, v249, v28                          // 00000000A33C: D20100A5 0473F31D
	v_mov_b32_e32 v30, v180                                    // 00000000A344: 7E3C03B4
	v_mov_b32_e32 v31, v181                                    // 00000000A348: 7E3E03B5
	v_cmp_u_f32_e64 s[74:75], v30, v30                         // 00000000A34C: D048004A 00023D1E
	v_bfe_u32 v248, v30, 16, 1                                 // 00000000A354: D1C800F8 0205211E
	v_add3_u32 v248, v30, v248, v251                           // 00000000A35C: D1FF00F8 07EFF11E
	v_cndmask_b32_e64 v28, v248, v250, s[74:75]                // 00000000A364: D100001C 012BF5F8
	v_lshrrev_b32_e32 v28, 16, v28                             // 00000000A36C: 20383890
	v_cmp_u_f32_e64 s[74:75], v31, v31                         // 00000000A370: D048004A 00023F1F
	v_bfe_u32 v248, v31, 16, 1                                 // 00000000A378: D1C800F8 0205211F
	v_add3_u32 v248, v31, v248, v251                           // 00000000A380: D1FF00F8 07EFF11F
	v_cndmask_b32_e64 v29, v248, v250, s[74:75]                // 00000000A388: D100001D 012BF5F8
	v_and_or_b32 v166, v29, v249, v28                          // 00000000A390: D20100A6 0473F31D
	v_mov_b32_e32 v30, v182                                    // 00000000A398: 7E3C03B6
	v_mov_b32_e32 v31, v183                                    // 00000000A39C: 7E3E03B7
	v_cmp_u_f32_e64 s[74:75], v30, v30                         // 00000000A3A0: D048004A 00023D1E
	v_bfe_u32 v248, v30, 16, 1                                 // 00000000A3A8: D1C800F8 0205211E
	v_add3_u32 v248, v30, v248, v251                           // 00000000A3B0: D1FF00F8 07EFF11E
	v_cndmask_b32_e64 v28, v248, v250, s[74:75]                // 00000000A3B8: D100001C 012BF5F8
	v_lshrrev_b32_e32 v28, 16, v28                             // 00000000A3C0: 20383890
	v_cmp_u_f32_e64 s[74:75], v31, v31                         // 00000000A3C4: D048004A 00023F1F
	v_bfe_u32 v248, v31, 16, 1                                 // 00000000A3CC: D1C800F8 0205211F
	v_add3_u32 v248, v31, v248, v251                           // 00000000A3D4: D1FF00F8 07EFF11F
	v_cndmask_b32_e64 v29, v248, v250, s[74:75]                // 00000000A3DC: D100001D 012BF5F8
	v_and_or_b32 v167, v29, v249, v28                          // 00000000A3E4: D20100A7 0473F31D
	ds_write_b64 v25, v[152:153]                               // 00000000A3EC: D89A0000 00009819
	ds_write_b64 v25, v[154:155] offset:528                    // 00000000A3F4: D89A0210 00009A19
	ds_write_b64 v25, v[156:157] offset:1056                   // 00000000A3FC: D89A0420 00009C19
	ds_write_b64 v25, v[158:159] offset:1584                   // 00000000A404: D89A0630 00009E19
	ds_write_b64 v25, v[160:161] offset:2112                   // 00000000A40C: D89A0840 0000A019
	ds_write_b64 v25, v[162:163] offset:2640                   // 00000000A414: D89A0A50 0000A219
	ds_write_b64 v25, v[164:165] offset:3168                   // 00000000A41C: D89A0C60 0000A419
	ds_write_b64 v25, v[166:167] offset:3696                   // 00000000A424: D89A0E70 0000A619
	s_waitcnt lgkmcnt(0)                                       // 00000000A42C: BF8CC07F
	s_barrier                                                  // 00000000A430: BF8A0000
	ds_read_b64 v[152:153], v24                                // 00000000A434: D8EC0000 98000018
	ds_read_b64 v[154:155], v24 offset:128                     // 00000000A43C: D8EC0080 9A000018
	ds_read_b64 v[156:157], v24 offset:32                      // 00000000A444: D8EC0020 9C000018
	ds_read_b64 v[158:159], v24 offset:160                     // 00000000A44C: D8EC00A0 9E000018
	ds_read_b64 v[160:161], v24 offset:64                      // 00000000A454: D8EC0040 A0000018
	ds_read_b64 v[162:163], v24 offset:192                     // 00000000A45C: D8EC00C0 A2000018
	ds_read_b64 v[164:165], v24 offset:96                      // 00000000A464: D8EC0060 A4000018
	ds_read_b64 v[166:167], v24 offset:224                     // 00000000A46C: D8EC00E0 A6000018
	s_waitcnt lgkmcnt(0)                                       // 00000000A474: BF8CC07F
	s_mov_b32 s70, s53                                         // 00000000A478: BEC60035
	buffer_store_dwordx4 v[152:155], v6, s[40:43], 0 idxen     // 00000000A47C: E07C2000 800A9806
	v_add_u32_e32 v6, s70, v6                                  // 00000000A484: 680C0C46
	buffer_store_dwordx4 v[156:159], v6, s[40:43], 0 idxen     // 00000000A488: E07C2000 800A9C06
	v_add_u32_e32 v6, s70, v6                                  // 00000000A490: 680C0C46
	buffer_store_dwordx4 v[160:163], v6, s[40:43], 0 idxen     // 00000000A494: E07C2000 800AA006
	v_add_u32_e32 v6, s70, v6                                  // 00000000A49C: 680C0C46
	buffer_store_dwordx4 v[164:167], v6, s[40:43], 0 idxen     // 00000000A4A0: E07C2000 800AA406
	v_add_u32_e32 v6, s70, v6                                  // 00000000A4A8: 680C0C46
	s_mul_i32 s60, 12, s70                                     // 00000000A4AC: 923C468C
	v_add_u32_e32 v6, s60, v6                                  // 00000000A4B0: 680C0C3C
	s_cmp_ge_i32 1, s73                                        // 00000000A4B4: BF034981
	s_cbranch_scc1 label_1CCB                                  // 00000000A4B8: BF850308
	v_mov_b32_e32 v30, v184                                    // 00000000A4BC: 7E3C03B8
	v_mov_b32_e32 v31, v185                                    // 00000000A4C0: 7E3E03B9
	v_cmp_u_f32_e64 s[74:75], v30, v30                         // 00000000A4C4: D048004A 00023D1E
	v_bfe_u32 v248, v30, 16, 1                                 // 00000000A4CC: D1C800F8 0205211E
	v_add3_u32 v248, v30, v248, v251                           // 00000000A4D4: D1FF00F8 07EFF11E
	v_cndmask_b32_e64 v28, v248, v250, s[74:75]                // 00000000A4DC: D100001C 012BF5F8
	v_lshrrev_b32_e32 v28, 16, v28                             // 00000000A4E4: 20383890
	v_cmp_u_f32_e64 s[74:75], v31, v31                         // 00000000A4E8: D048004A 00023F1F
	v_bfe_u32 v248, v31, 16, 1                                 // 00000000A4F0: D1C800F8 0205211F
	v_add3_u32 v248, v31, v248, v251                           // 00000000A4F8: D1FF00F8 07EFF11F
	v_cndmask_b32_e64 v29, v248, v250, s[74:75]                // 00000000A500: D100001D 012BF5F8
	v_and_or_b32 v168, v29, v249, v28                          // 00000000A508: D20100A8 0473F31D
	v_mov_b32_e32 v30, v186                                    // 00000000A510: 7E3C03BA
	v_mov_b32_e32 v31, v187                                    // 00000000A514: 7E3E03BB
	v_cmp_u_f32_e64 s[74:75], v30, v30                         // 00000000A518: D048004A 00023D1E
	v_bfe_u32 v248, v30, 16, 1                                 // 00000000A520: D1C800F8 0205211E
	v_add3_u32 v248, v30, v248, v251                           // 00000000A528: D1FF00F8 07EFF11E
	v_cndmask_b32_e64 v28, v248, v250, s[74:75]                // 00000000A530: D100001C 012BF5F8
	v_lshrrev_b32_e32 v28, 16, v28                             // 00000000A538: 20383890
	v_cmp_u_f32_e64 s[74:75], v31, v31                         // 00000000A53C: D048004A 00023F1F
	v_bfe_u32 v248, v31, 16, 1                                 // 00000000A544: D1C800F8 0205211F
	v_add3_u32 v248, v31, v248, v251                           // 00000000A54C: D1FF00F8 07EFF11F
	v_cndmask_b32_e64 v29, v248, v250, s[74:75]                // 00000000A554: D100001D 012BF5F8
	v_and_or_b32 v169, v29, v249, v28                          // 00000000A55C: D20100A9 0473F31D
	v_mov_b32_e32 v30, v188                                    // 00000000A564: 7E3C03BC
	v_mov_b32_e32 v31, v189                                    // 00000000A568: 7E3E03BD
	v_cmp_u_f32_e64 s[74:75], v30, v30                         // 00000000A56C: D048004A 00023D1E
	v_bfe_u32 v248, v30, 16, 1                                 // 00000000A574: D1C800F8 0205211E
	v_add3_u32 v248, v30, v248, v251                           // 00000000A57C: D1FF00F8 07EFF11E
	v_cndmask_b32_e64 v28, v248, v250, s[74:75]                // 00000000A584: D100001C 012BF5F8
	v_lshrrev_b32_e32 v28, 16, v28                             // 00000000A58C: 20383890
	v_cmp_u_f32_e64 s[74:75], v31, v31                         // 00000000A590: D048004A 00023F1F
	v_bfe_u32 v248, v31, 16, 1                                 // 00000000A598: D1C800F8 0205211F
	v_add3_u32 v248, v31, v248, v251                           // 00000000A5A0: D1FF00F8 07EFF11F
	v_cndmask_b32_e64 v29, v248, v250, s[74:75]                // 00000000A5A8: D100001D 012BF5F8
	v_and_or_b32 v170, v29, v249, v28                          // 00000000A5B0: D20100AA 0473F31D
	v_mov_b32_e32 v30, v190                                    // 00000000A5B8: 7E3C03BE
	v_mov_b32_e32 v31, v191                                    // 00000000A5BC: 7E3E03BF
	v_cmp_u_f32_e64 s[74:75], v30, v30                         // 00000000A5C0: D048004A 00023D1E
	v_bfe_u32 v248, v30, 16, 1                                 // 00000000A5C8: D1C800F8 0205211E
	v_add3_u32 v248, v30, v248, v251                           // 00000000A5D0: D1FF00F8 07EFF11E
	v_cndmask_b32_e64 v28, v248, v250, s[74:75]                // 00000000A5D8: D100001C 012BF5F8
	v_lshrrev_b32_e32 v28, 16, v28                             // 00000000A5E0: 20383890
	v_cmp_u_f32_e64 s[74:75], v31, v31                         // 00000000A5E4: D048004A 00023F1F
	v_bfe_u32 v248, v31, 16, 1                                 // 00000000A5EC: D1C800F8 0205211F
	v_add3_u32 v248, v31, v248, v251                           // 00000000A5F4: D1FF00F8 07EFF11F
	v_cndmask_b32_e64 v29, v248, v250, s[74:75]                // 00000000A5FC: D100001D 012BF5F8
	v_and_or_b32 v171, v29, v249, v28                          // 00000000A604: D20100AB 0473F31D
	v_mov_b32_e32 v30, v192                                    // 00000000A60C: 7E3C03C0
	v_mov_b32_e32 v31, v193                                    // 00000000A610: 7E3E03C1
	v_cmp_u_f32_e64 s[74:75], v30, v30                         // 00000000A614: D048004A 00023D1E
	v_bfe_u32 v248, v30, 16, 1                                 // 00000000A61C: D1C800F8 0205211E
	v_add3_u32 v248, v30, v248, v251                           // 00000000A624: D1FF00F8 07EFF11E
	v_cndmask_b32_e64 v28, v248, v250, s[74:75]                // 00000000A62C: D100001C 012BF5F8
	v_lshrrev_b32_e32 v28, 16, v28                             // 00000000A634: 20383890
	v_cmp_u_f32_e64 s[74:75], v31, v31                         // 00000000A638: D048004A 00023F1F
	v_bfe_u32 v248, v31, 16, 1                                 // 00000000A640: D1C800F8 0205211F
	v_add3_u32 v248, v31, v248, v251                           // 00000000A648: D1FF00F8 07EFF11F
	v_cndmask_b32_e64 v29, v248, v250, s[74:75]                // 00000000A650: D100001D 012BF5F8
	v_and_or_b32 v172, v29, v249, v28                          // 00000000A658: D20100AC 0473F31D
	v_mov_b32_e32 v30, v194                                    // 00000000A660: 7E3C03C2
	v_mov_b32_e32 v31, v195                                    // 00000000A664: 7E3E03C3
	v_cmp_u_f32_e64 s[74:75], v30, v30                         // 00000000A668: D048004A 00023D1E
	v_bfe_u32 v248, v30, 16, 1                                 // 00000000A670: D1C800F8 0205211E
	v_add3_u32 v248, v30, v248, v251                           // 00000000A678: D1FF00F8 07EFF11E
	v_cndmask_b32_e64 v28, v248, v250, s[74:75]                // 00000000A680: D100001C 012BF5F8
	v_lshrrev_b32_e32 v28, 16, v28                             // 00000000A688: 20383890
	v_cmp_u_f32_e64 s[74:75], v31, v31                         // 00000000A68C: D048004A 00023F1F
	v_bfe_u32 v248, v31, 16, 1                                 // 00000000A694: D1C800F8 0205211F
	v_add3_u32 v248, v31, v248, v251                           // 00000000A69C: D1FF00F8 07EFF11F
	v_cndmask_b32_e64 v29, v248, v250, s[74:75]                // 00000000A6A4: D100001D 012BF5F8
	v_and_or_b32 v173, v29, v249, v28                          // 00000000A6AC: D20100AD 0473F31D
	v_mov_b32_e32 v30, v196                                    // 00000000A6B4: 7E3C03C4
	v_mov_b32_e32 v31, v197                                    // 00000000A6B8: 7E3E03C5
	v_cmp_u_f32_e64 s[74:75], v30, v30                         // 00000000A6BC: D048004A 00023D1E
	v_bfe_u32 v248, v30, 16, 1                                 // 00000000A6C4: D1C800F8 0205211E
	v_add3_u32 v248, v30, v248, v251                           // 00000000A6CC: D1FF00F8 07EFF11E
	v_cndmask_b32_e64 v28, v248, v250, s[74:75]                // 00000000A6D4: D100001C 012BF5F8
	v_lshrrev_b32_e32 v28, 16, v28                             // 00000000A6DC: 20383890
	v_cmp_u_f32_e64 s[74:75], v31, v31                         // 00000000A6E0: D048004A 00023F1F
	v_bfe_u32 v248, v31, 16, 1                                 // 00000000A6E8: D1C800F8 0205211F
	v_add3_u32 v248, v31, v248, v251                           // 00000000A6F0: D1FF00F8 07EFF11F
	v_cndmask_b32_e64 v29, v248, v250, s[74:75]                // 00000000A6F8: D100001D 012BF5F8
	v_and_or_b32 v174, v29, v249, v28                          // 00000000A700: D20100AE 0473F31D
	v_mov_b32_e32 v30, v198                                    // 00000000A708: 7E3C03C6
	v_mov_b32_e32 v31, v199                                    // 00000000A70C: 7E3E03C7
	v_cmp_u_f32_e64 s[74:75], v30, v30                         // 00000000A710: D048004A 00023D1E
	v_bfe_u32 v248, v30, 16, 1                                 // 00000000A718: D1C800F8 0205211E
	v_add3_u32 v248, v30, v248, v251                           // 00000000A720: D1FF00F8 07EFF11E
	v_cndmask_b32_e64 v28, v248, v250, s[74:75]                // 00000000A728: D100001C 012BF5F8
	v_lshrrev_b32_e32 v28, 16, v28                             // 00000000A730: 20383890
	v_cmp_u_f32_e64 s[74:75], v31, v31                         // 00000000A734: D048004A 00023F1F
	v_bfe_u32 v248, v31, 16, 1                                 // 00000000A73C: D1C800F8 0205211F
	v_add3_u32 v248, v31, v248, v251                           // 00000000A744: D1FF00F8 07EFF11F
	v_cndmask_b32_e64 v29, v248, v250, s[74:75]                // 00000000A74C: D100001D 012BF5F8
	v_and_or_b32 v175, v29, v249, v28                          // 00000000A754: D20100AF 0473F31D
	v_mov_b32_e32 v30, v200                                    // 00000000A75C: 7E3C03C8
	v_mov_b32_e32 v31, v201                                    // 00000000A760: 7E3E03C9
	v_cmp_u_f32_e64 s[74:75], v30, v30                         // 00000000A764: D048004A 00023D1E
	v_bfe_u32 v248, v30, 16, 1                                 // 00000000A76C: D1C800F8 0205211E
	v_add3_u32 v248, v30, v248, v251                           // 00000000A774: D1FF00F8 07EFF11E
	v_cndmask_b32_e64 v28, v248, v250, s[74:75]                // 00000000A77C: D100001C 012BF5F8
	v_lshrrev_b32_e32 v28, 16, v28                             // 00000000A784: 20383890
	v_cmp_u_f32_e64 s[74:75], v31, v31                         // 00000000A788: D048004A 00023F1F
	v_bfe_u32 v248, v31, 16, 1                                 // 00000000A790: D1C800F8 0205211F
	v_add3_u32 v248, v31, v248, v251                           // 00000000A798: D1FF00F8 07EFF11F
	v_cndmask_b32_e64 v29, v248, v250, s[74:75]                // 00000000A7A0: D100001D 012BF5F8
	v_and_or_b32 v176, v29, v249, v28                          // 00000000A7A8: D20100B0 0473F31D
	v_mov_b32_e32 v30, v202                                    // 00000000A7B0: 7E3C03CA
	v_mov_b32_e32 v31, v203                                    // 00000000A7B4: 7E3E03CB
	v_cmp_u_f32_e64 s[74:75], v30, v30                         // 00000000A7B8: D048004A 00023D1E
	v_bfe_u32 v248, v30, 16, 1                                 // 00000000A7C0: D1C800F8 0205211E
	v_add3_u32 v248, v30, v248, v251                           // 00000000A7C8: D1FF00F8 07EFF11E
	v_cndmask_b32_e64 v28, v248, v250, s[74:75]                // 00000000A7D0: D100001C 012BF5F8
	v_lshrrev_b32_e32 v28, 16, v28                             // 00000000A7D8: 20383890
	v_cmp_u_f32_e64 s[74:75], v31, v31                         // 00000000A7DC: D048004A 00023F1F
	v_bfe_u32 v248, v31, 16, 1                                 // 00000000A7E4: D1C800F8 0205211F
	v_add3_u32 v248, v31, v248, v251                           // 00000000A7EC: D1FF00F8 07EFF11F
	v_cndmask_b32_e64 v29, v248, v250, s[74:75]                // 00000000A7F4: D100001D 012BF5F8
	v_and_or_b32 v177, v29, v249, v28                          // 00000000A7FC: D20100B1 0473F31D
	v_mov_b32_e32 v30, v204                                    // 00000000A804: 7E3C03CC
	v_mov_b32_e32 v31, v205                                    // 00000000A808: 7E3E03CD
	v_cmp_u_f32_e64 s[74:75], v30, v30                         // 00000000A80C: D048004A 00023D1E
	v_bfe_u32 v248, v30, 16, 1                                 // 00000000A814: D1C800F8 0205211E
	v_add3_u32 v248, v30, v248, v251                           // 00000000A81C: D1FF00F8 07EFF11E
	v_cndmask_b32_e64 v28, v248, v250, s[74:75]                // 00000000A824: D100001C 012BF5F8
	v_lshrrev_b32_e32 v28, 16, v28                             // 00000000A82C: 20383890
	v_cmp_u_f32_e64 s[74:75], v31, v31                         // 00000000A830: D048004A 00023F1F
	v_bfe_u32 v248, v31, 16, 1                                 // 00000000A838: D1C800F8 0205211F
	v_add3_u32 v248, v31, v248, v251                           // 00000000A840: D1FF00F8 07EFF11F
	v_cndmask_b32_e64 v29, v248, v250, s[74:75]                // 00000000A848: D100001D 012BF5F8
	v_and_or_b32 v178, v29, v249, v28                          // 00000000A850: D20100B2 0473F31D
	v_mov_b32_e32 v30, v206                                    // 00000000A858: 7E3C03CE
	v_mov_b32_e32 v31, v207                                    // 00000000A85C: 7E3E03CF
	v_cmp_u_f32_e64 s[74:75], v30, v30                         // 00000000A860: D048004A 00023D1E
	v_bfe_u32 v248, v30, 16, 1                                 // 00000000A868: D1C800F8 0205211E
	v_add3_u32 v248, v30, v248, v251                           // 00000000A870: D1FF00F8 07EFF11E
	v_cndmask_b32_e64 v28, v248, v250, s[74:75]                // 00000000A878: D100001C 012BF5F8
	v_lshrrev_b32_e32 v28, 16, v28                             // 00000000A880: 20383890
	v_cmp_u_f32_e64 s[74:75], v31, v31                         // 00000000A884: D048004A 00023F1F
	v_bfe_u32 v248, v31, 16, 1                                 // 00000000A88C: D1C800F8 0205211F
	v_add3_u32 v248, v31, v248, v251                           // 00000000A894: D1FF00F8 07EFF11F
	v_cndmask_b32_e64 v29, v248, v250, s[74:75]                // 00000000A89C: D100001D 012BF5F8
	v_and_or_b32 v179, v29, v249, v28                          // 00000000A8A4: D20100B3 0473F31D
	v_mov_b32_e32 v30, v208                                    // 00000000A8AC: 7E3C03D0
	v_mov_b32_e32 v31, v209                                    // 00000000A8B0: 7E3E03D1
	v_cmp_u_f32_e64 s[74:75], v30, v30                         // 00000000A8B4: D048004A 00023D1E
	v_bfe_u32 v248, v30, 16, 1                                 // 00000000A8BC: D1C800F8 0205211E
	v_add3_u32 v248, v30, v248, v251                           // 00000000A8C4: D1FF00F8 07EFF11E
	v_cndmask_b32_e64 v28, v248, v250, s[74:75]                // 00000000A8CC: D100001C 012BF5F8
	v_lshrrev_b32_e32 v28, 16, v28                             // 00000000A8D4: 20383890
	v_cmp_u_f32_e64 s[74:75], v31, v31                         // 00000000A8D8: D048004A 00023F1F
	v_bfe_u32 v248, v31, 16, 1                                 // 00000000A8E0: D1C800F8 0205211F
	v_add3_u32 v248, v31, v248, v251                           // 00000000A8E8: D1FF00F8 07EFF11F
	v_cndmask_b32_e64 v29, v248, v250, s[74:75]                // 00000000A8F0: D100001D 012BF5F8
	v_and_or_b32 v180, v29, v249, v28                          // 00000000A8F8: D20100B4 0473F31D
	v_mov_b32_e32 v30, v210                                    // 00000000A900: 7E3C03D2
	v_mov_b32_e32 v31, v211                                    // 00000000A904: 7E3E03D3
	v_cmp_u_f32_e64 s[74:75], v30, v30                         // 00000000A908: D048004A 00023D1E
	v_bfe_u32 v248, v30, 16, 1                                 // 00000000A910: D1C800F8 0205211E
	v_add3_u32 v248, v30, v248, v251                           // 00000000A918: D1FF00F8 07EFF11E
	v_cndmask_b32_e64 v28, v248, v250, s[74:75]                // 00000000A920: D100001C 012BF5F8
	v_lshrrev_b32_e32 v28, 16, v28                             // 00000000A928: 20383890
	v_cmp_u_f32_e64 s[74:75], v31, v31                         // 00000000A92C: D048004A 00023F1F
	v_bfe_u32 v248, v31, 16, 1                                 // 00000000A934: D1C800F8 0205211F
	v_add3_u32 v248, v31, v248, v251                           // 00000000A93C: D1FF00F8 07EFF11F
	v_cndmask_b32_e64 v29, v248, v250, s[74:75]                // 00000000A944: D100001D 012BF5F8
	v_and_or_b32 v181, v29, v249, v28                          // 00000000A94C: D20100B5 0473F31D
	v_mov_b32_e32 v30, v212                                    // 00000000A954: 7E3C03D4
	v_mov_b32_e32 v31, v213                                    // 00000000A958: 7E3E03D5
	v_cmp_u_f32_e64 s[74:75], v30, v30                         // 00000000A95C: D048004A 00023D1E
	v_bfe_u32 v248, v30, 16, 1                                 // 00000000A964: D1C800F8 0205211E
	v_add3_u32 v248, v30, v248, v251                           // 00000000A96C: D1FF00F8 07EFF11E
	v_cndmask_b32_e64 v28, v248, v250, s[74:75]                // 00000000A974: D100001C 012BF5F8
	v_lshrrev_b32_e32 v28, 16, v28                             // 00000000A97C: 20383890
	v_cmp_u_f32_e64 s[74:75], v31, v31                         // 00000000A980: D048004A 00023F1F
	v_bfe_u32 v248, v31, 16, 1                                 // 00000000A988: D1C800F8 0205211F
	v_add3_u32 v248, v31, v248, v251                           // 00000000A990: D1FF00F8 07EFF11F
	v_cndmask_b32_e64 v29, v248, v250, s[74:75]                // 00000000A998: D100001D 012BF5F8
	v_and_or_b32 v182, v29, v249, v28                          // 00000000A9A0: D20100B6 0473F31D
	v_mov_b32_e32 v30, v214                                    // 00000000A9A8: 7E3C03D6
	v_mov_b32_e32 v31, v215                                    // 00000000A9AC: 7E3E03D7
	v_cmp_u_f32_e64 s[74:75], v30, v30                         // 00000000A9B0: D048004A 00023D1E
	v_bfe_u32 v248, v30, 16, 1                                 // 00000000A9B8: D1C800F8 0205211E
	v_add3_u32 v248, v30, v248, v251                           // 00000000A9C0: D1FF00F8 07EFF11E
	v_cndmask_b32_e64 v28, v248, v250, s[74:75]                // 00000000A9C8: D100001C 012BF5F8
	v_lshrrev_b32_e32 v28, 16, v28                             // 00000000A9D0: 20383890
	v_cmp_u_f32_e64 s[74:75], v31, v31                         // 00000000A9D4: D048004A 00023F1F
	v_bfe_u32 v248, v31, 16, 1                                 // 00000000A9DC: D1C800F8 0205211F
	v_add3_u32 v248, v31, v248, v251                           // 00000000A9E4: D1FF00F8 07EFF11F
	v_cndmask_b32_e64 v29, v248, v250, s[74:75]                // 00000000A9EC: D100001D 012BF5F8
	v_and_or_b32 v183, v29, v249, v28                          // 00000000A9F4: D20100B7 0473F31D
	ds_write_b64 v25, v[168:169] offset:16896                  // 00000000A9FC: D89A4200 0000A819
	ds_write_b64 v25, v[170:171] offset:17424                  // 00000000AA04: D89A4410 0000AA19
	ds_write_b64 v25, v[172:173] offset:17952                  // 00000000AA0C: D89A4620 0000AC19
	ds_write_b64 v25, v[174:175] offset:18480                  // 00000000AA14: D89A4830 0000AE19
	ds_write_b64 v25, v[176:177] offset:19008                  // 00000000AA1C: D89A4A40 0000B019
	ds_write_b64 v25, v[178:179] offset:19536                  // 00000000AA24: D89A4C50 0000B219
	ds_write_b64 v25, v[180:181] offset:20064                  // 00000000AA2C: D89A4E60 0000B419
	ds_write_b64 v25, v[182:183] offset:20592                  // 00000000AA34: D89A5070 0000B619
	s_waitcnt lgkmcnt(0)                                       // 00000000AA3C: BF8CC07F
	s_barrier                                                  // 00000000AA40: BF8A0000
	ds_read_b64 v[168:169], v24 offset:16896                   // 00000000AA44: D8EC4200 A8000018
	ds_read_b64 v[170:171], v24 offset:17024                   // 00000000AA4C: D8EC4280 AA000018
	ds_read_b64 v[172:173], v24 offset:16928                   // 00000000AA54: D8EC4220 AC000018
	ds_read_b64 v[174:175], v24 offset:17056                   // 00000000AA5C: D8EC42A0 AE000018
	ds_read_b64 v[176:177], v24 offset:16960                   // 00000000AA64: D8EC4240 B0000018
	ds_read_b64 v[178:179], v24 offset:17088                   // 00000000AA6C: D8EC42C0 B2000018
	ds_read_b64 v[180:181], v24 offset:16992                   // 00000000AA74: D8EC4260 B4000018
	ds_read_b64 v[182:183], v24 offset:17120                   // 00000000AA7C: D8EC42E0 B6000018
	s_waitcnt lgkmcnt(0)                                       // 00000000AA84: BF8CC07F
	s_mov_b32 s70, s53                                         // 00000000AA88: BEC60035
	buffer_store_dwordx4 v[168:171], v6, s[40:43], 0 idxen     // 00000000AA8C: E07C2000 800AA806
	v_add_u32_e32 v6, s70, v6                                  // 00000000AA94: 680C0C46
	buffer_store_dwordx4 v[172:175], v6, s[40:43], 0 idxen     // 00000000AA98: E07C2000 800AAC06
	v_add_u32_e32 v6, s70, v6                                  // 00000000AAA0: 680C0C46
	buffer_store_dwordx4 v[176:179], v6, s[40:43], 0 idxen     // 00000000AAA4: E07C2000 800AB006
	v_add_u32_e32 v6, s70, v6                                  // 00000000AAAC: 680C0C46
	buffer_store_dwordx4 v[180:183], v6, s[40:43], 0 idxen     // 00000000AAB0: E07C2000 800AB406
	v_add_u32_e32 v6, s70, v6                                  // 00000000AAB8: 680C0C46
	s_mul_i32 s60, 12, s70                                     // 00000000AABC: 923C468C
	v_add_u32_e32 v6, s60, v6                                  // 00000000AAC0: 680C0C3C
	s_cmp_ge_i32 2, s73                                        // 00000000AAC4: BF034982
	s_cbranch_scc1 label_1CCB                                  // 00000000AAC8: BF850184
	v_mov_b32_e32 v30, v216                                    // 00000000AACC: 7E3C03D8
	v_mov_b32_e32 v31, v217                                    // 00000000AAD0: 7E3E03D9
	v_cmp_u_f32_e64 s[74:75], v30, v30                         // 00000000AAD4: D048004A 00023D1E
	v_bfe_u32 v248, v30, 16, 1                                 // 00000000AADC: D1C800F8 0205211E
	v_add3_u32 v248, v30, v248, v251                           // 00000000AAE4: D1FF00F8 07EFF11E
	v_cndmask_b32_e64 v28, v248, v250, s[74:75]                // 00000000AAEC: D100001C 012BF5F8
	v_lshrrev_b32_e32 v28, 16, v28                             // 00000000AAF4: 20383890
	v_cmp_u_f32_e64 s[74:75], v31, v31                         // 00000000AAF8: D048004A 00023F1F
	v_bfe_u32 v248, v31, 16, 1                                 // 00000000AB00: D1C800F8 0205211F
	v_add3_u32 v248, v31, v248, v251                           // 00000000AB08: D1FF00F8 07EFF11F
	v_cndmask_b32_e64 v29, v248, v250, s[74:75]                // 00000000AB10: D100001D 012BF5F8
	v_and_or_b32 v184, v29, v249, v28                          // 00000000AB18: D20100B8 0473F31D
	v_mov_b32_e32 v30, v218                                    // 00000000AB20: 7E3C03DA
	v_mov_b32_e32 v31, v219                                    // 00000000AB24: 7E3E03DB
	v_cmp_u_f32_e64 s[74:75], v30, v30                         // 00000000AB28: D048004A 00023D1E
	v_bfe_u32 v248, v30, 16, 1                                 // 00000000AB30: D1C800F8 0205211E
	v_add3_u32 v248, v30, v248, v251                           // 00000000AB38: D1FF00F8 07EFF11E
	v_cndmask_b32_e64 v28, v248, v250, s[74:75]                // 00000000AB40: D100001C 012BF5F8
	v_lshrrev_b32_e32 v28, 16, v28                             // 00000000AB48: 20383890
	v_cmp_u_f32_e64 s[74:75], v31, v31                         // 00000000AB4C: D048004A 00023F1F
	v_bfe_u32 v248, v31, 16, 1                                 // 00000000AB54: D1C800F8 0205211F
	v_add3_u32 v248, v31, v248, v251                           // 00000000AB5C: D1FF00F8 07EFF11F
	v_cndmask_b32_e64 v29, v248, v250, s[74:75]                // 00000000AB64: D100001D 012BF5F8
	v_and_or_b32 v185, v29, v249, v28                          // 00000000AB6C: D20100B9 0473F31D
	v_mov_b32_e32 v30, v220                                    // 00000000AB74: 7E3C03DC
	v_mov_b32_e32 v31, v221                                    // 00000000AB78: 7E3E03DD
	v_cmp_u_f32_e64 s[74:75], v30, v30                         // 00000000AB7C: D048004A 00023D1E
	v_bfe_u32 v248, v30, 16, 1                                 // 00000000AB84: D1C800F8 0205211E
	v_add3_u32 v248, v30, v248, v251                           // 00000000AB8C: D1FF00F8 07EFF11E
	v_cndmask_b32_e64 v28, v248, v250, s[74:75]                // 00000000AB94: D100001C 012BF5F8
	v_lshrrev_b32_e32 v28, 16, v28                             // 00000000AB9C: 20383890
	v_cmp_u_f32_e64 s[74:75], v31, v31                         // 00000000ABA0: D048004A 00023F1F
	v_bfe_u32 v248, v31, 16, 1                                 // 00000000ABA8: D1C800F8 0205211F
	v_add3_u32 v248, v31, v248, v251                           // 00000000ABB0: D1FF00F8 07EFF11F
	v_cndmask_b32_e64 v29, v248, v250, s[74:75]                // 00000000ABB8: D100001D 012BF5F8
	v_and_or_b32 v186, v29, v249, v28                          // 00000000ABC0: D20100BA 0473F31D
	v_mov_b32_e32 v30, v222                                    // 00000000ABC8: 7E3C03DE
	v_mov_b32_e32 v31, v223                                    // 00000000ABCC: 7E3E03DF
	v_cmp_u_f32_e64 s[74:75], v30, v30                         // 00000000ABD0: D048004A 00023D1E
	v_bfe_u32 v248, v30, 16, 1                                 // 00000000ABD8: D1C800F8 0205211E
	v_add3_u32 v248, v30, v248, v251                           // 00000000ABE0: D1FF00F8 07EFF11E
	v_cndmask_b32_e64 v28, v248, v250, s[74:75]                // 00000000ABE8: D100001C 012BF5F8
	v_lshrrev_b32_e32 v28, 16, v28                             // 00000000ABF0: 20383890
	v_cmp_u_f32_e64 s[74:75], v31, v31                         // 00000000ABF4: D048004A 00023F1F
	v_bfe_u32 v248, v31, 16, 1                                 // 00000000ABFC: D1C800F8 0205211F
	v_add3_u32 v248, v31, v248, v251                           // 00000000AC04: D1FF00F8 07EFF11F
	v_cndmask_b32_e64 v29, v248, v250, s[74:75]                // 00000000AC0C: D100001D 012BF5F8
	v_and_or_b32 v187, v29, v249, v28                          // 00000000AC14: D20100BB 0473F31D
	v_mov_b32_e32 v30, v224                                    // 00000000AC1C: 7E3C03E0
	v_mov_b32_e32 v31, v225                                    // 00000000AC20: 7E3E03E1
	v_cmp_u_f32_e64 s[74:75], v30, v30                         // 00000000AC24: D048004A 00023D1E
	v_bfe_u32 v248, v30, 16, 1                                 // 00000000AC2C: D1C800F8 0205211E
	v_add3_u32 v248, v30, v248, v251                           // 00000000AC34: D1FF00F8 07EFF11E
	v_cndmask_b32_e64 v28, v248, v250, s[74:75]                // 00000000AC3C: D100001C 012BF5F8
	v_lshrrev_b32_e32 v28, 16, v28                             // 00000000AC44: 20383890
	v_cmp_u_f32_e64 s[74:75], v31, v31                         // 00000000AC48: D048004A 00023F1F
	v_bfe_u32 v248, v31, 16, 1                                 // 00000000AC50: D1C800F8 0205211F
	v_add3_u32 v248, v31, v248, v251                           // 00000000AC58: D1FF00F8 07EFF11F
	v_cndmask_b32_e64 v29, v248, v250, s[74:75]                // 00000000AC60: D100001D 012BF5F8
	v_and_or_b32 v188, v29, v249, v28                          // 00000000AC68: D20100BC 0473F31D
	v_mov_b32_e32 v30, v226                                    // 00000000AC70: 7E3C03E2
	v_mov_b32_e32 v31, v227                                    // 00000000AC74: 7E3E03E3
	v_cmp_u_f32_e64 s[74:75], v30, v30                         // 00000000AC78: D048004A 00023D1E
	v_bfe_u32 v248, v30, 16, 1                                 // 00000000AC80: D1C800F8 0205211E
	v_add3_u32 v248, v30, v248, v251                           // 00000000AC88: D1FF00F8 07EFF11E
	v_cndmask_b32_e64 v28, v248, v250, s[74:75]                // 00000000AC90: D100001C 012BF5F8
	v_lshrrev_b32_e32 v28, 16, v28                             // 00000000AC98: 20383890
	v_cmp_u_f32_e64 s[74:75], v31, v31                         // 00000000AC9C: D048004A 00023F1F
	v_bfe_u32 v248, v31, 16, 1                                 // 00000000ACA4: D1C800F8 0205211F
	v_add3_u32 v248, v31, v248, v251                           // 00000000ACAC: D1FF00F8 07EFF11F
	v_cndmask_b32_e64 v29, v248, v250, s[74:75]                // 00000000ACB4: D100001D 012BF5F8
	v_and_or_b32 v189, v29, v249, v28                          // 00000000ACBC: D20100BD 0473F31D
	v_mov_b32_e32 v30, v228                                    // 00000000ACC4: 7E3C03E4
	v_mov_b32_e32 v31, v229                                    // 00000000ACC8: 7E3E03E5
	v_cmp_u_f32_e64 s[74:75], v30, v30                         // 00000000ACCC: D048004A 00023D1E
	v_bfe_u32 v248, v30, 16, 1                                 // 00000000ACD4: D1C800F8 0205211E
	v_add3_u32 v248, v30, v248, v251                           // 00000000ACDC: D1FF00F8 07EFF11E
	v_cndmask_b32_e64 v28, v248, v250, s[74:75]                // 00000000ACE4: D100001C 012BF5F8
	v_lshrrev_b32_e32 v28, 16, v28                             // 00000000ACEC: 20383890
	v_cmp_u_f32_e64 s[74:75], v31, v31                         // 00000000ACF0: D048004A 00023F1F
	v_bfe_u32 v248, v31, 16, 1                                 // 00000000ACF8: D1C800F8 0205211F
	v_add3_u32 v248, v31, v248, v251                           // 00000000AD00: D1FF00F8 07EFF11F
	v_cndmask_b32_e64 v29, v248, v250, s[74:75]                // 00000000AD08: D100001D 012BF5F8
	v_and_or_b32 v190, v29, v249, v28                          // 00000000AD10: D20100BE 0473F31D
	v_mov_b32_e32 v30, v230                                    // 00000000AD18: 7E3C03E6
	v_mov_b32_e32 v31, v231                                    // 00000000AD1C: 7E3E03E7
	v_cmp_u_f32_e64 s[74:75], v30, v30                         // 00000000AD20: D048004A 00023D1E
	v_bfe_u32 v248, v30, 16, 1                                 // 00000000AD28: D1C800F8 0205211E
	v_add3_u32 v248, v30, v248, v251                           // 00000000AD30: D1FF00F8 07EFF11E
	v_cndmask_b32_e64 v28, v248, v250, s[74:75]                // 00000000AD38: D100001C 012BF5F8
	v_lshrrev_b32_e32 v28, 16, v28                             // 00000000AD40: 20383890
	v_cmp_u_f32_e64 s[74:75], v31, v31                         // 00000000AD44: D048004A 00023F1F
	v_bfe_u32 v248, v31, 16, 1                                 // 00000000AD4C: D1C800F8 0205211F
	v_add3_u32 v248, v31, v248, v251                           // 00000000AD54: D1FF00F8 07EFF11F
	v_cndmask_b32_e64 v29, v248, v250, s[74:75]                // 00000000AD5C: D100001D 012BF5F8
	v_and_or_b32 v191, v29, v249, v28                          // 00000000AD64: D20100BF 0473F31D
	v_mov_b32_e32 v30, v232                                    // 00000000AD6C: 7E3C03E8
	v_mov_b32_e32 v31, v233                                    // 00000000AD70: 7E3E03E9
	v_cmp_u_f32_e64 s[74:75], v30, v30                         // 00000000AD74: D048004A 00023D1E
	v_bfe_u32 v248, v30, 16, 1                                 // 00000000AD7C: D1C800F8 0205211E
	v_add3_u32 v248, v30, v248, v251                           // 00000000AD84: D1FF00F8 07EFF11E
	v_cndmask_b32_e64 v28, v248, v250, s[74:75]                // 00000000AD8C: D100001C 012BF5F8
	v_lshrrev_b32_e32 v28, 16, v28                             // 00000000AD94: 20383890
	v_cmp_u_f32_e64 s[74:75], v31, v31                         // 00000000AD98: D048004A 00023F1F
	v_bfe_u32 v248, v31, 16, 1                                 // 00000000ADA0: D1C800F8 0205211F
	v_add3_u32 v248, v31, v248, v251                           // 00000000ADA8: D1FF00F8 07EFF11F
	v_cndmask_b32_e64 v29, v248, v250, s[74:75]                // 00000000ADB0: D100001D 012BF5F8
	v_and_or_b32 v192, v29, v249, v28                          // 00000000ADB8: D20100C0 0473F31D
	v_mov_b32_e32 v30, v234                                    // 00000000ADC0: 7E3C03EA
	v_mov_b32_e32 v31, v235                                    // 00000000ADC4: 7E3E03EB
	v_cmp_u_f32_e64 s[74:75], v30, v30                         // 00000000ADC8: D048004A 00023D1E
	v_bfe_u32 v248, v30, 16, 1                                 // 00000000ADD0: D1C800F8 0205211E
	v_add3_u32 v248, v30, v248, v251                           // 00000000ADD8: D1FF00F8 07EFF11E
	v_cndmask_b32_e64 v28, v248, v250, s[74:75]                // 00000000ADE0: D100001C 012BF5F8
	v_lshrrev_b32_e32 v28, 16, v28                             // 00000000ADE8: 20383890
	v_cmp_u_f32_e64 s[74:75], v31, v31                         // 00000000ADEC: D048004A 00023F1F
	v_bfe_u32 v248, v31, 16, 1                                 // 00000000ADF4: D1C800F8 0205211F
	v_add3_u32 v248, v31, v248, v251                           // 00000000ADFC: D1FF00F8 07EFF11F
	v_cndmask_b32_e64 v29, v248, v250, s[74:75]                // 00000000AE04: D100001D 012BF5F8
	v_and_or_b32 v193, v29, v249, v28                          // 00000000AE0C: D20100C1 0473F31D
	v_mov_b32_e32 v30, v236                                    // 00000000AE14: 7E3C03EC
	v_mov_b32_e32 v31, v237                                    // 00000000AE18: 7E3E03ED
	v_cmp_u_f32_e64 s[74:75], v30, v30                         // 00000000AE1C: D048004A 00023D1E
	v_bfe_u32 v248, v30, 16, 1                                 // 00000000AE24: D1C800F8 0205211E
	v_add3_u32 v248, v30, v248, v251                           // 00000000AE2C: D1FF00F8 07EFF11E
	v_cndmask_b32_e64 v28, v248, v250, s[74:75]                // 00000000AE34: D100001C 012BF5F8
	v_lshrrev_b32_e32 v28, 16, v28                             // 00000000AE3C: 20383890
	v_cmp_u_f32_e64 s[74:75], v31, v31                         // 00000000AE40: D048004A 00023F1F
	v_bfe_u32 v248, v31, 16, 1                                 // 00000000AE48: D1C800F8 0205211F
	v_add3_u32 v248, v31, v248, v251                           // 00000000AE50: D1FF00F8 07EFF11F
	v_cndmask_b32_e64 v29, v248, v250, s[74:75]                // 00000000AE58: D100001D 012BF5F8
	v_and_or_b32 v194, v29, v249, v28                          // 00000000AE60: D20100C2 0473F31D
	v_mov_b32_e32 v30, v238                                    // 00000000AE68: 7E3C03EE
	v_mov_b32_e32 v31, v239                                    // 00000000AE6C: 7E3E03EF
	v_cmp_u_f32_e64 s[74:75], v30, v30                         // 00000000AE70: D048004A 00023D1E
	v_bfe_u32 v248, v30, 16, 1                                 // 00000000AE78: D1C800F8 0205211E
	v_add3_u32 v248, v30, v248, v251                           // 00000000AE80: D1FF00F8 07EFF11E
	v_cndmask_b32_e64 v28, v248, v250, s[74:75]                // 00000000AE88: D100001C 012BF5F8
	v_lshrrev_b32_e32 v28, 16, v28                             // 00000000AE90: 20383890
	v_cmp_u_f32_e64 s[74:75], v31, v31                         // 00000000AE94: D048004A 00023F1F
	v_bfe_u32 v248, v31, 16, 1                                 // 00000000AE9C: D1C800F8 0205211F
	v_add3_u32 v248, v31, v248, v251                           // 00000000AEA4: D1FF00F8 07EFF11F
	v_cndmask_b32_e64 v29, v248, v250, s[74:75]                // 00000000AEAC: D100001D 012BF5F8
	v_and_or_b32 v195, v29, v249, v28                          // 00000000AEB4: D20100C3 0473F31D
	v_mov_b32_e32 v30, v240                                    // 00000000AEBC: 7E3C03F0
	v_mov_b32_e32 v31, v241                                    // 00000000AEC0: 7E3E03F1
	v_cmp_u_f32_e64 s[74:75], v30, v30                         // 00000000AEC4: D048004A 00023D1E
	v_bfe_u32 v248, v30, 16, 1                                 // 00000000AECC: D1C800F8 0205211E
	v_add3_u32 v248, v30, v248, v251                           // 00000000AED4: D1FF00F8 07EFF11E
	v_cndmask_b32_e64 v28, v248, v250, s[74:75]                // 00000000AEDC: D100001C 012BF5F8
	v_lshrrev_b32_e32 v28, 16, v28                             // 00000000AEE4: 20383890
	v_cmp_u_f32_e64 s[74:75], v31, v31                         // 00000000AEE8: D048004A 00023F1F
	v_bfe_u32 v248, v31, 16, 1                                 // 00000000AEF0: D1C800F8 0205211F
	v_add3_u32 v248, v31, v248, v251                           // 00000000AEF8: D1FF00F8 07EFF11F
	v_cndmask_b32_e64 v29, v248, v250, s[74:75]                // 00000000AF00: D100001D 012BF5F8
	v_and_or_b32 v196, v29, v249, v28                          // 00000000AF08: D20100C4 0473F31D
	v_mov_b32_e32 v30, v242                                    // 00000000AF10: 7E3C03F2
	v_mov_b32_e32 v31, v243                                    // 00000000AF14: 7E3E03F3
	v_cmp_u_f32_e64 s[74:75], v30, v30                         // 00000000AF18: D048004A 00023D1E
	v_bfe_u32 v248, v30, 16, 1                                 // 00000000AF20: D1C800F8 0205211E
	v_add3_u32 v248, v30, v248, v251                           // 00000000AF28: D1FF00F8 07EFF11E
	v_cndmask_b32_e64 v28, v248, v250, s[74:75]                // 00000000AF30: D100001C 012BF5F8
	v_lshrrev_b32_e32 v28, 16, v28                             // 00000000AF38: 20383890
	v_cmp_u_f32_e64 s[74:75], v31, v31                         // 00000000AF3C: D048004A 00023F1F
	v_bfe_u32 v248, v31, 16, 1                                 // 00000000AF44: D1C800F8 0205211F
	v_add3_u32 v248, v31, v248, v251                           // 00000000AF4C: D1FF00F8 07EFF11F
	v_cndmask_b32_e64 v29, v248, v250, s[74:75]                // 00000000AF54: D100001D 012BF5F8
	v_and_or_b32 v197, v29, v249, v28                          // 00000000AF5C: D20100C5 0473F31D
	v_mov_b32_e32 v30, v244                                    // 00000000AF64: 7E3C03F4
	v_mov_b32_e32 v31, v245                                    // 00000000AF68: 7E3E03F5
	v_cmp_u_f32_e64 s[74:75], v30, v30                         // 00000000AF6C: D048004A 00023D1E
	v_bfe_u32 v248, v30, 16, 1                                 // 00000000AF74: D1C800F8 0205211E
	v_add3_u32 v248, v30, v248, v251                           // 00000000AF7C: D1FF00F8 07EFF11E
	v_cndmask_b32_e64 v28, v248, v250, s[74:75]                // 00000000AF84: D100001C 012BF5F8
	v_lshrrev_b32_e32 v28, 16, v28                             // 00000000AF8C: 20383890
	v_cmp_u_f32_e64 s[74:75], v31, v31                         // 00000000AF90: D048004A 00023F1F
	v_bfe_u32 v248, v31, 16, 1                                 // 00000000AF98: D1C800F8 0205211F
	v_add3_u32 v248, v31, v248, v251                           // 00000000AFA0: D1FF00F8 07EFF11F
	v_cndmask_b32_e64 v29, v248, v250, s[74:75]                // 00000000AFA8: D100001D 012BF5F8
	v_and_or_b32 v198, v29, v249, v28                          // 00000000AFB0: D20100C6 0473F31D
	v_mov_b32_e32 v30, v246                                    // 00000000AFB8: 7E3C03F6
	v_mov_b32_e32 v31, v247                                    // 00000000AFBC: 7E3E03F7
	v_cmp_u_f32_e64 s[74:75], v30, v30                         // 00000000AFC0: D048004A 00023D1E
	v_bfe_u32 v248, v30, 16, 1                                 // 00000000AFC8: D1C800F8 0205211E
	v_add3_u32 v248, v30, v248, v251                           // 00000000AFD0: D1FF00F8 07EFF11E
	v_cndmask_b32_e64 v28, v248, v250, s[74:75]                // 00000000AFD8: D100001C 012BF5F8
	v_lshrrev_b32_e32 v28, 16, v28                             // 00000000AFE0: 20383890
	v_cmp_u_f32_e64 s[74:75], v31, v31                         // 00000000AFE4: D048004A 00023F1F
	v_bfe_u32 v248, v31, 16, 1                                 // 00000000AFEC: D1C800F8 0205211F
	v_add3_u32 v248, v31, v248, v251                           // 00000000AFF4: D1FF00F8 07EFF11F
	v_cndmask_b32_e64 v29, v248, v250, s[74:75]                // 00000000AFFC: D100001D 012BF5F8
	v_and_or_b32 v199, v29, v249, v28                          // 00000000B004: D20100C7 0473F31D
	ds_write_b64 v25, v[184:185] offset:33792                  // 00000000B00C: D89A8400 0000B819
	ds_write_b64 v25, v[186:187] offset:34320                  // 00000000B014: D89A8610 0000BA19
	ds_write_b64 v25, v[188:189] offset:34848                  // 00000000B01C: D89A8820 0000BC19
	ds_write_b64 v25, v[190:191] offset:35376                  // 00000000B024: D89A8A30 0000BE19
	ds_write_b64 v25, v[192:193] offset:35904                  // 00000000B02C: D89A8C40 0000C019
	ds_write_b64 v25, v[194:195] offset:36432                  // 00000000B034: D89A8E50 0000C219
	ds_write_b64 v25, v[196:197] offset:36960                  // 00000000B03C: D89A9060 0000C419
	ds_write_b64 v25, v[198:199] offset:37488                  // 00000000B044: D89A9270 0000C619
	s_waitcnt lgkmcnt(0)                                       // 00000000B04C: BF8CC07F
	s_barrier                                                  // 00000000B050: BF8A0000
	ds_read_b64 v[184:185], v24 offset:33792                   // 00000000B054: D8EC8400 B8000018
	ds_read_b64 v[186:187], v24 offset:33920                   // 00000000B05C: D8EC8480 BA000018
	ds_read_b64 v[188:189], v24 offset:33824                   // 00000000B064: D8EC8420 BC000018
	ds_read_b64 v[190:191], v24 offset:33952                   // 00000000B06C: D8EC84A0 BE000018
	ds_read_b64 v[192:193], v24 offset:33856                   // 00000000B074: D8EC8440 C0000018
	ds_read_b64 v[194:195], v24 offset:33984                   // 00000000B07C: D8EC84C0 C2000018
	ds_read_b64 v[196:197], v24 offset:33888                   // 00000000B084: D8EC8460 C4000018
	ds_read_b64 v[198:199], v24 offset:34016                   // 00000000B08C: D8EC84E0 C6000018
	s_waitcnt lgkmcnt(0)                                       // 00000000B094: BF8CC07F
	s_mov_b32 s70, s53                                         // 00000000B098: BEC60035
	buffer_store_dwordx4 v[184:187], v6, s[40:43], 0 idxen     // 00000000B09C: E07C2000 800AB806
	v_add_u32_e32 v6, s70, v6                                  // 00000000B0A4: 680C0C46
	buffer_store_dwordx4 v[188:191], v6, s[40:43], 0 idxen     // 00000000B0A8: E07C2000 800ABC06
	v_add_u32_e32 v6, s70, v6                                  // 00000000B0B0: 680C0C46
	buffer_store_dwordx4 v[192:195], v6, s[40:43], 0 idxen     // 00000000B0B4: E07C2000 800AC006
	v_add_u32_e32 v6, s70, v6                                  // 00000000B0BC: 680C0C46
	buffer_store_dwordx4 v[196:199], v6, s[40:43], 0 idxen     // 00000000B0C0: E07C2000 800AC406
	v_add_u32_e32 v6, s70, v6                                  // 00000000B0C8: 680C0C46
	s_mul_i32 s60, 12, s70                                     // 00000000B0CC: 923C468C
	v_add_u32_e32 v6, s60, v6                                  // 00000000B0D0: 680C0C3C
	s_cmp_ge_i32 3, s73                                        // 00000000B0D4: BF034983
	s_cbranch_scc1 label_1CCB                                  // 00000000B0D8: BF850000

000000000000b0dc <label_1CCB>:
	s_waitcnt vmcnt(0) expcnt(0) lgkmcnt(0)                    // 00000000B0DC: BF8C0000
	s_endpgm                                                   // 00000000B0E0: BF810000
